;; amdgpu-corpus repo=ROCm/rocFFT kind=compiled arch=gfx950 opt=O3
	.text
	.amdgcn_target "amdgcn-amd-amdhsa--gfx950"
	.amdhsa_code_object_version 6
	.protected	bluestein_single_fwd_len765_dim1_dp_op_CI_CI ; -- Begin function bluestein_single_fwd_len765_dim1_dp_op_CI_CI
	.globl	bluestein_single_fwd_len765_dim1_dp_op_CI_CI
	.p2align	8
	.type	bluestein_single_fwd_len765_dim1_dp_op_CI_CI,@function
bluestein_single_fwd_len765_dim1_dp_op_CI_CI: ; @bluestein_single_fwd_len765_dim1_dp_op_CI_CI
; %bb.0:
	s_load_dwordx4 s[8:11], s[0:1], 0x28
	v_mul_u32_u24_e32 v1, 0x506, v0
	v_lshrrev_b32_e32 v2, 16, v1
	v_mad_u64_u32 v[234:235], s[2:3], s2, 5, v[2:3]
	v_mov_b32_e32 v233, 0
	v_mov_b32_e32 v235, v233
	s_waitcnt lgkmcnt(0)
	v_cmp_gt_u64_e32 vcc, s[8:9], v[234:235]
	s_and_saveexec_b64 s[2:3], vcc
	s_cbranch_execz .LBB0_15
; %bb.1:
	v_mul_lo_u16_e32 v1, 51, v2
	s_mov_b32 s2, 0xcccccccd
	v_sub_u16_e32 v232, v0, v1
	v_mul_hi_u32 v0, v234, s2
	s_load_dwordx2 s[8:9], s[0:1], 0x0
	s_load_dwordx2 s[12:13], s[0:1], 0x38
	v_lshrrev_b32_e32 v0, 2, v0
	v_lshl_add_u32 v0, v0, 2, v0
	v_sub_u32_e32 v0, v234, v0
	v_mul_u32_u24_e32 v235, 0x2fd, v0
	v_cmp_gt_u16_e64 s[2:3], 45, v232
	v_lshlrev_b32_e32 v194, 4, v232
	v_lshlrev_b32_e32 v236, 4, v235
	s_and_saveexec_b64 s[14:15], s[2:3]
	s_cbranch_execz .LBB0_3
; %bb.2:
	s_load_dwordx2 s[4:5], s[0:1], 0x18
	v_mov_b32_e32 v0, s10
	v_mov_b32_e32 v1, s11
	;; [unrolled: 1-line block ×4, first 2 shown]
	s_waitcnt lgkmcnt(0)
	s_load_dwordx4 s[4:7], s[4:5], 0x0
	v_lshl_add_u64 v[36:37], s[8:9], 0, v[194:195]
	v_lshl_add_u32 v140, v232, 4, v236
	s_waitcnt lgkmcnt(0)
	v_mad_u64_u32 v[2:3], s[10:11], s6, v234, 0
	v_mad_u64_u32 v[4:5], s[10:11], s4, v232, 0
	v_mov_b32_e32 v6, v3
	v_mov_b32_e32 v8, v5
	v_mad_u64_u32 v[6:7], s[6:7], s7, v234, v[6:7]
	v_mov_b32_e32 v3, v6
	v_mad_u64_u32 v[6:7], s[6:7], s5, v232, v[8:9]
	v_mov_b32_e32 v5, v6
	v_lshl_add_u64 v[0:1], v[2:3], 4, v[0:1]
	v_lshl_add_u64 v[28:29], v[4:5], 4, v[0:1]
	s_movk_i32 s6, 0x1000
	global_load_dwordx4 v[0:3], v194, s[8:9]
	global_load_dwordx4 v[4:7], v[28:29], off
	v_add_co_u32_e32 v84, vcc, s6, v36
	s_mul_i32 s11, s5, 0x2d0
	v_mad_u64_u32 v[28:29], s[6:7], s4, v30, v[28:29]
	v_add_u32_e32 v29, s11, v29
	global_load_dwordx4 v[8:11], v194, s[8:9] offset:720
	global_load_dwordx4 v[12:15], v194, s[8:9] offset:1440
	;; [unrolled: 1-line block ×5, first 2 shown]
	s_movk_i32 s10, 0x2000
	v_addc_co_u32_e32 v85, vcc, 0, v37, vcc
	global_load_dwordx4 v[32:35], v[28:29], off
	v_mad_u64_u32 v[28:29], s[6:7], s4, v30, v[28:29]
	v_add_co_u32_e32 v132, vcc, s10, v36
	v_add_u32_e32 v29, s11, v29
	s_nop 0
	v_addc_co_u32_e32 v133, vcc, 0, v37, vcc
	global_load_dwordx4 v[36:39], v[28:29], off
	v_mad_u64_u32 v[28:29], s[6:7], s4, v30, v[28:29]
	v_add_u32_e32 v29, s11, v29
	global_load_dwordx4 v[40:43], v[28:29], off
	global_load_dwordx4 v[44:47], v[84:85], off offset:224
	global_load_dwordx4 v[48:51], v[84:85], off offset:944
	v_mad_u64_u32 v[28:29], s[6:7], s4, v30, v[28:29]
	v_add_u32_e32 v29, s11, v29
	global_load_dwordx4 v[52:55], v[28:29], off
	v_mad_u64_u32 v[28:29], s[6:7], s4, v30, v[28:29]
	v_add_u32_e32 v29, s11, v29
	global_load_dwordx4 v[56:59], v[28:29], off
	global_load_dwordx4 v[60:63], v[84:85], off offset:1664
	global_load_dwordx4 v[64:67], v[84:85], off offset:2384
	v_mad_u64_u32 v[28:29], s[6:7], s4, v30, v[28:29]
	v_add_u32_e32 v29, s11, v29
	;; [unrolled: 8-line block ×3, first 2 shown]
	global_load_dwordx4 v[84:87], v[28:29], off
	global_load_dwordx4 v[88:91], v[132:133], off offset:3328
	v_mad_u64_u32 v[28:29], s[6:7], s4, v30, v[28:29]
	v_add_u32_e32 v29, s11, v29
	global_load_dwordx4 v[92:95], v[28:29], off
	v_mad_u64_u32 v[28:29], s[6:7], s4, v30, v[28:29]
	v_add_u32_e32 v29, s11, v29
	global_load_dwordx4 v[96:99], v[28:29], off
	;; [unrolled: 3-line block ×4, first 2 shown]
	global_load_dwordx4 v[108:111], v[132:133], off offset:448
	v_mad_u64_u32 v[120:121], s[6:7], s4, v30, v[112:113]
	v_add_u32_e32 v121, s11, v121
	global_load_dwordx4 v[112:115], v[120:121], off
	global_load_dwordx4 v[116:119], v[132:133], off offset:1168
	v_mad_u64_u32 v[128:129], s[6:7], s4, v30, v[120:121]
	v_add_u32_e32 v129, s11, v129
	global_load_dwordx4 v[120:123], v[128:129], off
	;; [unrolled: 4-line block ×3, first 2 shown]
	s_nop 0
	global_load_dwordx4 v[132:135], v[132:133], off offset:2608
	v_mad_u64_u32 v[30:31], s[4:5], s4, v30, v[136:137]
	v_add_u32_e32 v31, s11, v31
	global_load_dwordx4 v[136:139], v[30:31], off
	s_waitcnt vmcnt(32)
	v_mul_f64 v[28:29], v[6:7], v[2:3]
	v_mul_f64 v[2:3], v[4:5], v[2:3]
	v_fmac_f64_e32 v[28:29], v[4:5], v[0:1]
	v_fma_f64 v[30:31], v[6:7], v[0:1], -v[2:3]
	v_add_u32_e32 v4, v236, v194
	ds_write_b128 v140, v[28:31]
	s_waitcnt vmcnt(26)
	v_mul_f64 v[0:1], v[34:35], v[10:11]
	v_mul_f64 v[2:3], v[32:33], v[10:11]
	v_fmac_f64_e32 v[0:1], v[32:33], v[8:9]
	v_fma_f64 v[2:3], v[34:35], v[8:9], -v[2:3]
	ds_write_b128 v4, v[0:3] offset:720
	s_waitcnt vmcnt(25)
	v_mul_f64 v[0:1], v[38:39], v[14:15]
	v_mul_f64 v[2:3], v[36:37], v[14:15]
	v_fmac_f64_e32 v[0:1], v[36:37], v[12:13]
	v_fma_f64 v[2:3], v[38:39], v[12:13], -v[2:3]
	ds_write_b128 v4, v[0:3] offset:1440
	;; [unrolled: 6-line block ×16, first 2 shown]
.LBB0_3:
	s_or_b64 exec, exec, s[14:15]
	s_load_dwordx2 s[4:5], s[0:1], 0x20
	s_load_dwordx2 s[10:11], s[0:1], 0x8
	s_waitcnt lgkmcnt(0)
	s_barrier
	s_waitcnt lgkmcnt(0)
                                        ; implicit-def: $vgpr8_vgpr9
                                        ; implicit-def: $vgpr12_vgpr13
                                        ; implicit-def: $vgpr16_vgpr17
                                        ; implicit-def: $vgpr20_vgpr21
                                        ; implicit-def: $vgpr24_vgpr25
                                        ; implicit-def: $vgpr28_vgpr29
                                        ; implicit-def: $vgpr32_vgpr33
                                        ; implicit-def: $vgpr36_vgpr37
                                        ; implicit-def: $vgpr40_vgpr41
                                        ; implicit-def: $vgpr44_vgpr45
                                        ; implicit-def: $vgpr48_vgpr49
                                        ; implicit-def: $vgpr52_vgpr53
                                        ; implicit-def: $vgpr56_vgpr57
                                        ; implicit-def: $vgpr60_vgpr61
                                        ; implicit-def: $vgpr64_vgpr65
                                        ; implicit-def: $vgpr68_vgpr69
                                        ; implicit-def: $vgpr72_vgpr73
	s_and_saveexec_b64 s[0:1], s[2:3]
	s_cbranch_execz .LBB0_5
; %bb.4:
	v_lshl_add_u32 v0, v235, 4, v194
	ds_read_b128 v[8:11], v0
	ds_read_b128 v[12:15], v0 offset:720
	ds_read_b128 v[16:19], v0 offset:1440
	;; [unrolled: 1-line block ×16, first 2 shown]
.LBB0_5:
	s_or_b64 exec, exec, s[0:1]
	s_mov_b32 s24, 0x5d8e7cdc
	s_waitcnt lgkmcnt(0)
	v_add_f64 v[116:117], v[14:15], -v[74:75]
	s_mov_b32 s0, 0x370991
	s_mov_b32 s25, 0xbfd71e95
	;; [unrolled: 1-line block ×3, first 2 shown]
	v_add_f64 v[150:151], v[12:13], v[72:73]
	v_add_f64 v[168:169], v[12:13], -v[72:73]
	s_mov_b32 s1, 0x3fedd6d0
	v_mul_f64 v[84:85], v[116:117], s[24:25]
	s_mov_b32 s14, 0x75d4884
	s_mov_b32 s39, 0xbfe58eea
	v_add_f64 v[118:119], v[18:19], -v[70:71]
	v_add_f64 v[160:161], v[14:15], v[74:75]
	v_mul_f64 v[86:87], v[168:169], s[24:25]
	v_fma_f64 v[0:1], s[0:1], v[150:151], v[84:85]
	s_mov_b32 s15, 0x3fe7a5f6
	v_add_f64 v[170:171], v[16:17], v[68:69]
	v_add_f64 v[192:193], v[16:17], -v[68:69]
	v_mul_f64 v[124:125], v[118:119], s[38:39]
	s_mov_b32 s30, 0xeb564b22
	v_add_f64 v[0:1], v[8:9], v[0:1]
	v_fma_f64 v[2:3], v[160:161], s[0:1], -v[86:87]
	v_mul_f64 v[128:129], v[116:117], s[38:39]
	v_add_f64 v[172:173], v[18:19], v[70:71]
	v_mul_f64 v[126:127], v[192:193], s[38:39]
	v_fma_f64 v[76:77], s[14:15], v[170:171], v[124:125]
	s_mov_b32 s18, 0x3259b75e
	s_mov_b32 s31, 0xbfefdd0d
	v_add_f64 v[2:3], v[10:11], v[2:3]
	v_mul_f64 v[132:133], v[168:169], s[38:39]
	v_fma_f64 v[4:5], s[14:15], v[150:151], v[128:129]
	v_add_f64 v[0:1], v[76:77], v[0:1]
	v_fma_f64 v[76:77], v[172:173], s[14:15], -v[126:127]
	s_mov_b32 s19, 0x3fb79ee6
	v_mul_f64 v[134:135], v[118:119], s[30:31]
	s_mov_b32 s34, 0x7c9e640b
	v_add_f64 v[4:5], v[8:9], v[4:5]
	v_fma_f64 v[6:7], v[160:161], s[14:15], -v[132:133]
	v_add_f64 v[2:3], v[76:77], v[2:3]
	v_mul_f64 v[140:141], v[192:193], s[30:31]
	v_fma_f64 v[76:77], s[18:19], v[170:171], v[134:135]
	v_add_f64 v[220:221], v[22:23], -v[66:67]
	s_mov_b32 s16, 0x2b2883cd
	s_mov_b32 s35, 0xbfeca52d
	v_add_f64 v[6:7], v[10:11], v[6:7]
	v_add_f64 v[4:5], v[76:77], v[4:5]
	v_fma_f64 v[76:77], v[172:173], s[18:19], -v[140:141]
	v_add_f64 v[174:175], v[20:21], v[64:65]
	v_add_f64 v[212:213], v[20:21], -v[64:65]
	s_mov_b32 s17, 0x3fdc86fa
	v_mul_f64 v[130:131], v[220:221], s[34:35]
	s_mov_b32 s36, 0x6c9a05f6
	v_add_f64 v[6:7], v[76:77], v[6:7]
	v_add_f64 v[176:177], v[22:23], v[66:67]
	v_mul_f64 v[136:137], v[212:213], s[34:35]
	v_fma_f64 v[76:77], s[16:17], v[174:175], v[130:131]
	s_mov_b32 s20, 0x6ed5f1bb
	s_mov_b32 s37, 0xbfe9895b
	v_add_f64 v[0:1], v[76:77], v[0:1]
	v_fma_f64 v[76:77], v[176:177], s[16:17], -v[136:137]
	s_mov_b32 s21, 0xbfe348c8
	v_mul_f64 v[144:145], v[220:221], s[36:37]
	v_add_f64 v[2:3], v[76:77], v[2:3]
	v_mul_f64 v[148:149], v[212:213], s[36:37]
	v_fma_f64 v[76:77], s[20:21], v[174:175], v[144:145]
	v_add_f64 v[228:229], v[26:27], -v[62:63]
	v_add_f64 v[4:5], v[76:77], v[4:5]
	v_fma_f64 v[76:77], v[176:177], s[20:21], -v[148:149]
	v_add_f64 v[186:187], v[24:25], v[60:61]
	v_add_f64 v[224:225], v[24:25], -v[60:61]
	v_mul_f64 v[138:139], v[228:229], s[30:31]
	s_mov_b32 s44, 0xacd6c6b4
	v_add_f64 v[6:7], v[76:77], v[6:7]
	v_add_f64 v[188:189], v[26:27], v[62:63]
	v_mul_f64 v[142:143], v[224:225], s[30:31]
	v_fma_f64 v[76:77], s[18:19], v[186:187], v[138:139]
	s_mov_b32 s22, 0x7faef3
	s_mov_b32 s45, 0xbfc7851a
	v_add_f64 v[0:1], v[76:77], v[0:1]
	v_fma_f64 v[76:77], v[188:189], s[18:19], -v[142:143]
	s_mov_b32 s23, 0xbfef7484
	v_mul_f64 v[152:153], v[228:229], s[44:45]
	s_mov_b32 s48, 0x923c349f
	v_add_f64 v[2:3], v[76:77], v[2:3]
	v_mul_f64 v[158:159], v[224:225], s[44:45]
	v_fma_f64 v[76:77], s[22:23], v[186:187], v[152:153]
	v_add_f64 v[230:231], v[30:31], -v[58:59]
	s_mov_b32 s28, 0xc61f0d01
	s_mov_b32 s49, 0xbfeec746
	v_add_f64 v[4:5], v[76:77], v[4:5]
	v_fma_f64 v[76:77], v[188:189], s[22:23], -v[158:159]
	v_add_f64 v[196:197], v[28:29], v[56:57]
	v_add_f64 v[226:227], v[28:29], -v[56:57]
	s_mov_b32 s29, 0xbfd183b1
	v_mul_f64 v[146:147], v[230:231], s[48:49]
	s_mov_b32 s40, 0x4363dd80
	v_add_f64 v[6:7], v[76:77], v[6:7]
	v_add_f64 v[198:199], v[30:31], v[58:59]
	v_mul_f64 v[154:155], v[226:227], s[48:49]
	v_fma_f64 v[76:77], s[28:29], v[196:197], v[146:147]
	s_mov_b32 s26, 0x910ea3b9
	s_mov_b32 s41, 0x3fe0d888
	v_add_f64 v[0:1], v[76:77], v[0:1]
	v_fma_f64 v[76:77], v[198:199], s[28:29], -v[154:155]
	s_mov_b32 s27, 0xbfeb34fa
	v_mul_f64 v[166:167], v[230:231], s[40:41]
	v_add_f64 v[2:3], v[76:77], v[2:3]
	v_mul_f64 v[184:185], v[226:227], s[40:41]
	v_fma_f64 v[76:77], s[26:27], v[196:197], v[166:167]
	v_add_f64 v[240:241], v[34:35], -v[54:55]
	v_add_f64 v[4:5], v[76:77], v[4:5]
	v_fma_f64 v[76:77], v[198:199], s[26:27], -v[184:185]
	v_add_f64 v[206:207], v[32:33], v[52:53]
	v_add_f64 v[238:239], v[32:33], -v[52:53]
	v_mul_f64 v[156:157], v[240:241], s[36:37]
	v_add_f64 v[6:7], v[76:77], v[6:7]
	v_add_f64 v[208:209], v[34:35], v[54:55]
	v_mul_f64 v[162:163], v[238:239], s[36:37]
	v_fma_f64 v[76:77], s[20:21], v[206:207], v[156:157]
	s_mov_b32 s43, 0x3feec746
	s_mov_b32 s42, s48
	v_add_f64 v[0:1], v[76:77], v[0:1]
	v_fma_f64 v[76:77], v[208:209], s[20:21], -v[162:163]
	v_mul_f64 v[182:183], v[240:241], s[42:43]
	v_add_f64 v[2:3], v[76:77], v[2:3]
	v_mul_f64 v[200:201], v[238:239], s[42:43]
	v_fma_f64 v[76:77], s[28:29], v[206:207], v[182:183]
	v_add_f64 v[244:245], v[38:39], -v[50:51]
	s_mov_b32 s47, 0xbfe0d888
	s_mov_b32 s46, s40
	v_add_f64 v[4:5], v[76:77], v[4:5]
	v_fma_f64 v[76:77], v[208:209], s[28:29], -v[200:201]
	v_add_f64 v[210:211], v[36:37], v[48:49]
	v_add_f64 v[242:243], v[36:37], -v[48:49]
	v_mul_f64 v[164:165], v[244:245], s[46:47]
	v_add_f64 v[6:7], v[76:77], v[6:7]
	v_add_f64 v[202:203], v[38:39], v[50:51]
	v_mul_f64 v[178:179], v[242:243], s[46:47]
	v_fma_f64 v[76:77], s[26:27], v[210:211], v[164:165]
	v_add_f64 v[76:77], v[76:77], v[0:1]
	v_fma_f64 v[0:1], v[202:203], s[26:27], -v[178:179]
	s_mov_b32 s51, 0x3feca52d
	s_mov_b32 s50, s34
	v_add_f64 v[78:79], v[0:1], v[2:3]
	v_mul_f64 v[2:3], v[244:245], s[50:51]
	v_mul_f64 v[214:215], v[242:243], s[50:51]
	v_fma_f64 v[0:1], s[16:17], v[210:211], v[2:3]
	v_add_f64 v[248:249], v[42:43], -v[46:47]
	v_add_f64 v[4:5], v[0:1], v[4:5]
	v_fma_f64 v[0:1], v[202:203], s[16:17], -v[214:215]
	v_add_f64 v[216:217], v[40:41], v[44:45]
	v_add_f64 v[246:247], v[40:41], -v[44:45]
	v_mul_f64 v[180:181], v[248:249], s[44:45]
	v_add_f64 v[6:7], v[0:1], v[6:7]
	v_add_f64 v[218:219], v[42:43], v[46:47]
	v_mul_f64 v[0:1], v[246:247], s[44:45]
	v_fma_f64 v[80:81], s[22:23], v[216:217], v[180:181]
	s_mov_b32 s53, 0x3fd71e95
	s_mov_b32 s52, s24
	v_add_f64 v[80:81], v[80:81], v[76:77]
	v_fma_f64 v[76:77], v[218:219], s[22:23], -v[0:1]
	v_mul_f64 v[204:205], v[248:249], s[52:53]
	v_add_f64 v[82:83], v[76:77], v[78:79]
	v_mul_f64 v[222:223], v[246:247], s[52:53]
	v_fma_f64 v[76:77], s[0:1], v[216:217], v[204:205]
	v_accvgpr_write_b32 a10, v80
	v_add_f64 v[250:251], v[76:77], v[4:5]
	v_fma_f64 v[4:5], v[218:219], s[0:1], -v[222:223]
	v_accvgpr_write_b32 a11, v81
	v_accvgpr_write_b32 a12, v82
	;; [unrolled: 1-line block ×3, first 2 shown]
	v_add_f64 v[252:253], v[4:5], v[6:7]
	s_barrier
	s_and_saveexec_b64 s[6:7], s[2:3]
	s_cbranch_execz .LBB0_7
; %bb.6:
	v_mul_f64 v[100:101], v[160:161], s[22:23]
	s_mov_b32 s55, 0x3fc7851a
	s_mov_b32 s54, s44
	v_mul_f64 v[96:97], v[172:173], s[0:1]
	v_fma_f64 v[102:103], s[54:55], v[168:169], v[100:101]
	v_mul_f64 v[92:93], v[176:177], s[26:27]
	v_fma_f64 v[98:99], s[24:25], v[192:193], v[96:97]
	v_add_f64 v[102:103], v[10:11], v[102:103]
	v_mul_f64 v[110:111], v[116:117], s[44:45]
	v_accvgpr_write_b32 a22, v84
	v_mul_f64 v[88:89], v[188:189], s[14:15]
	v_fma_f64 v[94:95], s[40:41], v[212:213], v[92:93]
	v_add_f64 v[98:99], v[98:99], v[102:103]
	v_mul_f64 v[106:107], v[118:119], s[52:53]
	v_fma_f64 v[112:113], s[22:23], v[150:151], v[110:111]
	v_accvgpr_write_b32 a23, v85
	v_mul_f64 v[84:85], v[198:199], s[20:21]
	s_mov_b32 s59, 0x3fe9895b
	s_mov_b32 s58, s36
	v_accvgpr_write_b32 a24, v86
	v_fma_f64 v[90:91], s[38:39], v[224:225], v[88:89]
	v_add_f64 v[94:95], v[94:95], v[98:99]
	s_mov_b32 s57, 0x3fe58eea
	s_mov_b32 s56, s38
	v_mul_f64 v[104:105], v[220:221], s[46:47]
	v_fma_f64 v[108:109], s[0:1], v[170:171], v[106:107]
	v_add_f64 v[112:113], v[8:9], v[112:113]
	v_mul_f64 v[82:83], v[208:209], s[16:17]
	v_accvgpr_write_b32 a25, v87
	v_fma_f64 v[86:87], s[58:59], v[226:227], v[84:85]
	v_add_f64 v[90:91], v[90:91], v[94:95]
	v_mul_f64 v[102:103], v[228:229], s[56:57]
	v_add_f64 v[108:109], v[108:109], v[112:113]
	v_fma_f64 v[112:113], s[26:27], v[174:175], v[104:105]
	v_mul_f64 v[80:81], v[202:203], s[28:29]
	v_fma_f64 v[78:79], s[34:35], v[238:239], v[82:83]
	v_add_f64 v[86:87], v[86:87], v[90:91]
	v_mul_f64 v[98:99], v[230:231], s[36:37]
	v_add_f64 v[108:109], v[112:113], v[108:109]
	v_fma_f64 v[112:113], s[14:15], v[186:187], v[102:103]
	v_mul_f64 v[4:5], v[218:219], s[18:19]
	v_fma_f64 v[76:77], s[42:43], v[242:243], v[80:81]
	v_add_f64 v[78:79], v[78:79], v[86:87]
	v_mul_f64 v[94:95], v[240:241], s[50:51]
	v_add_f64 v[108:109], v[112:113], v[108:109]
	v_fma_f64 v[112:113], s[20:21], v[196:197], v[98:99]
	v_fma_f64 v[6:7], s[30:31], v[246:247], v[4:5]
	v_add_f64 v[76:77], v[76:77], v[78:79]
	s_mov_b32 s61, 0x3fefdd0d
	s_mov_b32 s60, s30
	v_mul_f64 v[86:87], v[244:245], s[48:49]
	v_add_f64 v[108:109], v[112:113], v[108:109]
	v_fma_f64 v[112:113], s[16:17], v[206:207], v[94:95]
	v_add_f64 v[78:79], v[6:7], v[76:77]
	v_mul_f64 v[6:7], v[248:249], s[60:61]
	v_fma_f64 v[90:91], s[28:29], v[210:211], v[86:87]
	v_add_f64 v[108:109], v[112:113], v[108:109]
	v_fma_f64 v[76:77], s[18:19], v[216:217], v[6:7]
	v_add_f64 v[90:91], v[90:91], v[108:109]
	v_fmac_f64_e32 v[100:101], s[44:45], v[168:169]
	v_add_f64 v[76:77], v[76:77], v[90:91]
	v_fmac_f64_e32 v[96:97], s[52:53], v[192:193]
	;; [unrolled: 2-line block ×6, first 2 shown]
	v_add_f64 v[84:85], v[84:85], v[88:89]
	v_fma_f64 v[92:93], v[150:151], s[22:23], -v[110:111]
	v_fmac_f64_e32 v[80:81], s[48:49], v[242:243]
	v_add_f64 v[82:83], v[82:83], v[84:85]
	v_fma_f64 v[90:91], v[170:171], s[0:1], -v[106:107]
	v_add_f64 v[92:93], v[8:9], v[92:93]
	v_accvgpr_write_b32 a14, v76
	v_fmac_f64_e32 v[4:5], s[60:61], v[246:247]
	v_add_f64 v[80:81], v[80:81], v[82:83]
	v_fma_f64 v[88:89], v[174:175], s[26:27], -v[104:105]
	v_add_f64 v[90:91], v[90:91], v[92:93]
	v_mul_f64 v[106:107], v[160:161], s[26:27]
	v_accvgpr_write_b32 a15, v77
	v_accvgpr_write_b32 a16, v78
	;; [unrolled: 1-line block ×3, first 2 shown]
	v_add_f64 v[78:79], v[4:5], v[80:81]
	v_fma_f64 v[4:5], v[216:217], s[18:19], -v[6:7]
	v_fma_f64 v[6:7], v[210:211], s[28:29], -v[86:87]
	;; [unrolled: 1-line block ×3, first 2 shown]
	v_add_f64 v[88:89], v[88:89], v[90:91]
	v_mul_f64 v[102:103], v[172:173], s[16:17]
	v_fma_f64 v[108:109], s[40:41], v[168:169], v[106:107]
	v_fma_f64 v[84:85], v[196:197], s[20:21], -v[98:99]
	v_add_f64 v[86:87], v[86:87], v[88:89]
	v_mul_f64 v[98:99], v[176:177], s[18:19]
	v_fma_f64 v[104:105], s[34:35], v[192:193], v[102:103]
	v_add_f64 v[108:109], v[10:11], v[108:109]
	v_fma_f64 v[80:81], v[206:207], s[16:17], -v[94:95]
	v_add_f64 v[84:85], v[84:85], v[86:87]
	v_mul_f64 v[94:95], v[188:189], s[20:21]
	v_fma_f64 v[100:101], s[60:61], v[212:213], v[98:99]
	v_add_f64 v[104:105], v[104:105], v[108:109]
	v_add_f64 v[80:81], v[80:81], v[84:85]
	v_mul_f64 v[90:91], v[198:199], s[0:1]
	v_fma_f64 v[96:97], s[36:37], v[224:225], v[94:95]
	v_add_f64 v[100:101], v[100:101], v[104:105]
	;; [unrolled: 4-line block ×4, first 2 shown]
	v_mul_f64 v[112:113], v[116:117], s[46:47]
	v_fma_f64 v[84:85], s[38:39], v[242:243], v[6:7]
	v_add_f64 v[86:87], v[86:87], v[92:93]
	v_mul_f64 v[110:111], v[118:119], s[50:51]
	v_fma_f64 v[114:115], s[26:27], v[150:151], v[112:113]
	v_fmac_f64_e32 v[106:107], s[46:47], v[168:169]
	v_add_f64 v[84:85], v[84:85], v[86:87]
	v_mul_f64 v[108:109], v[220:221], s[30:31]
	v_fma_f64 v[86:87], s[16:17], v[170:171], v[110:111]
	v_add_f64 v[114:115], v[8:9], v[114:115]
	v_fmac_f64_e32 v[102:103], s[50:51], v[192:193]
	v_add_f64 v[106:107], v[10:11], v[106:107]
	v_mul_f64 v[104:105], v[228:229], s[58:59]
	v_add_f64 v[86:87], v[86:87], v[114:115]
	v_fma_f64 v[114:115], s[18:19], v[174:175], v[108:109]
	v_fmac_f64_e32 v[98:99], s[30:31], v[212:213]
	v_add_f64 v[102:103], v[102:103], v[106:107]
	v_mul_f64 v[100:101], v[230:231], s[24:25]
	v_add_f64 v[86:87], v[114:115], v[86:87]
	v_fma_f64 v[114:115], s[20:21], v[186:187], v[104:105]
	;; [unrolled: 5-line block ×5, first 2 shown]
	v_fmac_f64_e32 v[6:7], s[56:57], v[242:243]
	v_add_f64 v[88:89], v[88:89], v[90:91]
	v_add_f64 v[114:115], v[114:115], v[86:87]
	v_fma_f64 v[86:87], s[42:43], v[246:247], v[4:5]
	v_fmac_f64_e32 v[4:5], s[48:49], v[246:247]
	v_add_f64 v[6:7], v[6:7], v[88:89]
	v_add_f64 v[90:91], v[4:5], v[6:7]
	v_fma_f64 v[6:7], v[210:211], s[14:15], -v[92:93]
	v_fma_f64 v[92:93], v[196:197], s[0:1], -v[100:101]
	v_fma_f64 v[100:101], v[150:151], s[26:27], -v[112:113]
	v_mul_f64 v[190:191], v[248:249], s[48:49]
	v_fma_f64 v[98:99], v[170:171], s[16:17], -v[110:111]
	v_add_f64 v[100:101], v[8:9], v[100:101]
	v_add_f64 v[86:87], v[86:87], v[84:85]
	v_fma_f64 v[84:85], s[28:29], v[216:217], v[190:191]
	v_fma_f64 v[88:89], v[206:207], s[22:23], -v[96:97]
	v_fma_f64 v[96:97], v[174:175], s[18:19], -v[108:109]
	v_add_f64 v[98:99], v[98:99], v[100:101]
	v_mul_f64 v[112:113], v[160:161], s[20:21]
	v_add_f64 v[84:85], v[84:85], v[114:115]
	v_fma_f64 v[94:95], v[186:187], s[20:21], -v[104:105]
	v_add_f64 v[96:97], v[96:97], v[98:99]
	v_mul_f64 v[108:109], v[172:173], s[28:29]
	v_fma_f64 v[114:115], s[58:59], v[168:169], v[112:113]
	v_add_f64 v[94:95], v[94:95], v[96:97]
	v_mul_f64 v[104:105], v[176:177], s[0:1]
	v_fma_f64 v[110:111], s[48:49], v[192:193], v[108:109]
	v_add_f64 v[114:115], v[10:11], v[114:115]
	v_add_f64 v[92:93], v[92:93], v[94:95]
	v_mul_f64 v[100:101], v[188:189], s[26:27]
	v_fma_f64 v[106:107], s[52:53], v[212:213], v[104:105]
	v_add_f64 v[110:111], v[110:111], v[114:115]
	;; [unrolled: 4-line block ×3, first 2 shown]
	v_fma_f64 v[4:5], v[216:217], s[28:29], -v[190:191]
	v_add_f64 v[6:7], v[6:7], v[88:89]
	v_mul_f64 v[96:97], v[208:209], s[14:15]
	v_fma_f64 v[94:95], s[30:31], v[226:227], v[98:99]
	v_add_f64 v[102:103], v[102:103], v[106:107]
	v_fmac_f64_e32 v[112:113], s[36:37], v[168:169]
	v_add_f64 v[88:89], v[4:5], v[6:7]
	v_mul_f64 v[4:5], v[202:203], s[22:23]
	v_fma_f64 v[92:93], s[56:57], v[238:239], v[96:97]
	v_add_f64 v[94:95], v[94:95], v[102:103]
	v_mul_f64 v[114:115], v[116:117], s[36:37]
	v_fmac_f64_e32 v[108:109], s[42:43], v[192:193]
	v_add_f64 v[112:113], v[10:11], v[112:113]
	v_fma_f64 v[6:7], s[54:55], v[242:243], v[4:5]
	v_add_f64 v[92:93], v[92:93], v[94:95]
	v_mul_f64 v[110:111], v[118:119], s[42:43]
	v_fma_f64 v[94:95], s[20:21], v[150:151], v[114:115]
	v_add_f64 v[108:109], v[108:109], v[112:113]
	v_fmac_f64_e32 v[104:105], s[24:25], v[212:213]
	v_add_f64 v[6:7], v[6:7], v[92:93]
	v_mul_f64 v[106:107], v[220:221], s[24:25]
	v_fma_f64 v[92:93], s[28:29], v[170:171], v[110:111]
	v_add_f64 v[94:95], v[8:9], v[94:95]
	v_add_f64 v[104:105], v[104:105], v[108:109]
	v_fmac_f64_e32 v[100:101], s[46:47], v[224:225]
	v_fma_f64 v[108:109], v[150:151], s[20:21], -v[114:115]
	v_mul_f64 v[102:103], v[228:229], s[46:47]
	v_add_f64 v[92:93], v[92:93], v[94:95]
	v_fma_f64 v[94:95], s[0:1], v[174:175], v[106:107]
	v_add_f64 v[100:101], v[100:101], v[104:105]
	v_fma_f64 v[104:105], v[174:175], s[0:1], -v[106:107]
	v_fma_f64 v[106:107], v[170:171], s[28:29], -v[110:111]
	v_add_f64 v[108:109], v[8:9], v[108:109]
	v_add_f64 v[92:93], v[94:95], v[92:93]
	v_fma_f64 v[94:95], s[26:27], v[186:187], v[102:103]
	v_mul_f64 v[190:191], v[230:231], s[60:61]
	v_fmac_f64_e32 v[98:99], s[60:61], v[226:227]
	v_add_f64 v[106:107], v[106:107], v[108:109]
	v_add_f64 v[92:93], v[94:95], v[92:93]
	v_fma_f64 v[94:95], s[18:19], v[196:197], v[190:191]
	v_accvgpr_write_b32 a0, v194
	v_mul_f64 v[194:195], v[240:241], s[38:39]
	v_accvgpr_write_b32 a2, v232
	v_add_f64 v[98:99], v[98:99], v[100:101]
	v_fmac_f64_e32 v[96:97], s[38:39], v[238:239]
	v_fma_f64 v[102:103], v[186:187], s[26:27], -v[102:103]
	v_add_f64 v[104:105], v[104:105], v[106:107]
	v_add_f64 v[92:93], v[94:95], v[92:93]
	v_fma_f64 v[94:95], s[14:15], v[206:207], v[194:195]
	v_accvgpr_write_b32 a3, v233
	v_mul_f64 v[232:233], v[244:245], s[44:45]
	v_fmac_f64_e32 v[4:5], s[44:45], v[242:243]
	v_add_f64 v[96:97], v[96:97], v[98:99]
	v_fma_f64 v[100:101], v[196:197], s[18:19], -v[190:191]
	v_add_f64 v[102:103], v[102:103], v[104:105]
	v_mul_f64 v[114:115], v[160:161], s[28:29]
	v_add_f64 v[92:93], v[94:95], v[92:93]
	v_fma_f64 v[94:95], s[22:23], v[210:211], v[232:233]
	v_accvgpr_write_b32 a4, v234
	v_accvgpr_write_b32 a1, v235
	v_mul_f64 v[234:235], v[218:219], s[16:17]
	v_add_f64 v[4:5], v[4:5], v[96:97]
	v_fma_f64 v[96:97], v[206:207], s[14:15], -v[194:195]
	v_add_f64 v[100:101], v[100:101], v[102:103]
	v_mul_f64 v[112:113], v[172:173], s[26:27]
	v_fma_f64 v[102:103], s[42:43], v[168:169], v[114:115]
	v_add_f64 v[92:93], v[94:95], v[92:93]
	v_fma_f64 v[94:95], s[34:35], v[246:247], v[234:235]
	v_add_f64 v[96:97], v[96:97], v[100:101]
	v_mul_f64 v[110:111], v[176:177], s[14:15]
	v_fma_f64 v[100:101], s[46:47], v[192:193], v[112:113]
	v_add_f64 v[102:103], v[10:11], v[102:103]
	v_add_f64 v[94:95], v[94:95], v[6:7]
	v_mul_f64 v[6:7], v[248:249], s[50:51]
	v_fmac_f64_e32 v[234:235], s[50:51], v[246:247]
	v_mul_f64 v[108:109], v[188:189], s[16:17]
	v_add_f64 v[100:101], v[100:101], v[102:103]
	v_fma_f64 v[102:103], s[38:39], v[212:213], v[110:111]
	v_accvgpr_write_b32 a5, v236
	v_fma_f64 v[236:237], s[16:17], v[216:217], v[6:7]
	v_add_f64 v[98:99], v[234:235], v[4:5]
	v_fma_f64 v[4:5], v[216:217], s[16:17], -v[6:7]
	v_fma_f64 v[6:7], v[210:211], s[22:23], -v[232:233]
	v_mul_f64 v[106:107], v[198:199], s[22:23]
	v_add_f64 v[100:101], v[102:103], v[100:101]
	v_fma_f64 v[102:103], s[50:51], v[224:225], v[108:109]
	v_add_f64 v[6:7], v[6:7], v[96:97]
	v_mul_f64 v[104:105], v[208:209], s[18:19]
	v_add_f64 v[100:101], v[102:103], v[100:101]
	v_fma_f64 v[102:103], s[54:55], v[226:227], v[106:107]
	v_add_f64 v[96:97], v[4:5], v[6:7]
	v_mul_f64 v[4:5], v[202:203], s[0:1]
	v_add_f64 v[100:101], v[102:103], v[100:101]
	v_fma_f64 v[102:103], s[30:31], v[238:239], v[104:105]
	v_fma_f64 v[6:7], s[52:53], v[242:243], v[4:5]
	v_add_f64 v[100:101], v[102:103], v[100:101]
	v_mul_f64 v[190:191], v[116:117], s[48:49]
	v_add_f64 v[6:7], v[6:7], v[100:101]
	v_fma_f64 v[100:101], s[28:29], v[150:151], v[190:191]
	v_mul_f64 v[194:195], v[118:119], s[40:41]
	v_add_f64 v[100:101], v[8:9], v[100:101]
	v_fma_f64 v[102:103], s[26:27], v[170:171], v[194:195]
	;; [unrolled: 3-line block ×3, first 2 shown]
	v_mul_f64 v[234:235], v[228:229], s[34:35]
	v_add_f64 v[92:93], v[236:237], v[92:93]
	v_add_f64 v[100:101], v[102:103], v[100:101]
	v_fma_f64 v[102:103], s[16:17], v[186:187], v[234:235]
	v_mul_f64 v[236:237], v[230:231], s[44:45]
	v_accvgpr_write_b32 a6, v250
	v_add_f64 v[100:101], v[102:103], v[100:101]
	v_fma_f64 v[102:103], s[22:23], v[196:197], v[236:237]
	v_accvgpr_write_b32 a7, v251
	v_accvgpr_write_b32 a8, v252
	;; [unrolled: 1-line block ×3, first 2 shown]
	v_mul_f64 v[250:251], v[240:241], s[60:61]
	v_add_f64 v[100:101], v[102:103], v[100:101]
	v_fma_f64 v[102:103], s[18:19], v[206:207], v[250:251]
	v_mul_f64 v[252:253], v[244:245], s[24:25]
	v_add_f64 v[100:101], v[102:103], v[100:101]
	v_fma_f64 v[102:103], s[0:1], v[210:211], v[252:253]
	;; [unrolled: 3-line block ×3, first 2 shown]
	v_accvgpr_write_b32 a18, v76
	v_add_f64 v[102:103], v[102:103], v[6:7]
	v_mul_f64 v[6:7], v[248:249], s[36:37]
	v_accvgpr_write_b32 a19, v77
	v_accvgpr_write_b32 a20, v78
	;; [unrolled: 1-line block ×3, first 2 shown]
	v_fma_f64 v[76:77], s[20:21], v[216:217], v[6:7]
	v_fmac_f64_e32 v[114:115], s[48:49], v[168:169]
	v_add_f64 v[100:101], v[76:77], v[100:101]
	v_fmac_f64_e32 v[112:113], s[40:41], v[192:193]
	v_add_f64 v[76:77], v[10:11], v[114:115]
	v_add_f64 v[76:77], v[112:113], v[76:77]
	v_fmac_f64_e32 v[110:111], s[56:57], v[212:213]
	v_add_f64 v[76:77], v[110:111], v[76:77]
	v_fmac_f64_e32 v[108:109], s[34:35], v[224:225]
	;; [unrolled: 2-line block ×5, first 2 shown]
	v_fma_f64 v[78:79], v[150:151], s[28:29], -v[190:191]
	v_add_f64 v[4:5], v[4:5], v[76:77]
	v_fma_f64 v[76:77], v[170:171], s[26:27], -v[194:195]
	v_add_f64 v[78:79], v[8:9], v[78:79]
	v_add_f64 v[76:77], v[76:77], v[78:79]
	v_fma_f64 v[78:79], v[174:175], s[14:15], -v[232:233]
	v_add_f64 v[76:77], v[78:79], v[76:77]
	v_fma_f64 v[108:109], v[186:187], s[16:17], -v[234:235]
	v_fma_f64 v[104:105], v[196:197], s[22:23], -v[236:237]
	v_add_f64 v[76:77], v[108:109], v[76:77]
	v_fmac_f64_e32 v[254:255], s[36:37], v[246:247]
	v_fma_f64 v[78:79], v[206:207], s[18:19], -v[250:251]
	v_add_f64 v[76:77], v[104:105], v[76:77]
	v_add_f64 v[106:107], v[254:255], v[4:5]
	v_fma_f64 v[4:5], v[216:217], s[20:21], -v[6:7]
	v_fma_f64 v[6:7], v[210:211], s[0:1], -v[252:253]
	v_add_f64 v[76:77], v[78:79], v[76:77]
	v_mul_f64 v[112:113], v[160:161], s[18:19]
	v_add_f64 v[6:7], v[6:7], v[76:77]
	v_mul_f64 v[76:77], v[172:173], s[22:23]
	v_fma_f64 v[108:109], s[60:61], v[168:169], v[112:113]
	v_add_f64 v[104:105], v[4:5], v[6:7]
	v_mul_f64 v[6:7], v[176:177], s[28:29]
	v_fma_f64 v[78:79], s[54:55], v[192:193], v[76:77]
	v_add_f64 v[108:109], v[10:11], v[108:109]
	v_mul_f64 v[4:5], v[188:189], s[0:1]
	v_add_f64 v[78:79], v[78:79], v[108:109]
	v_fma_f64 v[108:109], s[48:49], v[212:213], v[6:7]
	v_add_f64 v[78:79], v[108:109], v[78:79]
	v_fma_f64 v[108:109], s[24:25], v[224:225], v[4:5]
	v_mul_f64 v[114:115], v[198:199], s[16:17]
	v_add_f64 v[78:79], v[108:109], v[78:79]
	v_fma_f64 v[108:109], s[50:51], v[226:227], v[114:115]
	v_mul_f64 v[190:191], v[208:209], s[26:27]
	;; [unrolled: 3-line block ×11, first 2 shown]
	v_add_f64 v[108:109], v[110:111], v[108:109]
	v_fma_f64 v[110:111], s[38:39], v[246:247], v[122:123]
	v_add_f64 v[110:111], v[110:111], v[78:79]
	v_mul_f64 v[78:79], v[248:249], s[56:57]
	v_fma_f64 v[80:81], s[14:15], v[216:217], v[78:79]
	v_fmac_f64_e32 v[112:113], s[30:31], v[168:169]
	v_add_f64 v[108:109], v[80:81], v[108:109]
	v_fmac_f64_e32 v[76:77], s[44:45], v[192:193]
	v_add_f64 v[80:81], v[10:11], v[112:113]
	v_add_f64 v[76:77], v[76:77], v[80:81]
	v_fmac_f64_e32 v[6:7], s[42:43], v[212:213]
	v_add_f64 v[6:7], v[6:7], v[76:77]
	v_fmac_f64_e32 v[4:5], s[52:53], v[224:225]
	v_fma_f64 v[76:77], v[150:151], s[18:19], -v[232:233]
	v_add_f64 v[4:5], v[4:5], v[6:7]
	v_fma_f64 v[6:7], v[170:171], s[22:23], -v[234:235]
	v_add_f64 v[76:77], v[8:9], v[76:77]
	v_add_f64 v[6:7], v[6:7], v[76:77]
	v_fma_f64 v[76:77], v[174:175], s[28:29], -v[236:237]
	v_fmac_f64_e32 v[114:115], s[34:35], v[226:227]
	v_add_f64 v[6:7], v[76:77], v[6:7]
	v_fma_f64 v[76:77], v[186:187], s[0:1], -v[250:251]
	v_add_f64 v[4:5], v[114:115], v[4:5]
	v_fmac_f64_e32 v[190:191], s[46:47], v[238:239]
	v_add_f64 v[6:7], v[76:77], v[6:7]
	v_fma_f64 v[76:77], v[196:197], s[16:17], -v[252:253]
	v_add_f64 v[4:5], v[190:191], v[4:5]
	;; [unrolled: 4-line block ×3, first 2 shown]
	v_add_f64 v[6:7], v[76:77], v[6:7]
	v_fma_f64 v[76:77], v[210:211], s[20:21], -v[120:121]
	v_fmac_f64_e32 v[122:123], s[56:57], v[246:247]
	v_add_f64 v[6:7], v[76:77], v[6:7]
	v_add_f64 v[114:115], v[122:123], v[4:5]
	v_fma_f64 v[4:5], v[216:217], s[14:15], -v[78:79]
	v_add_f64 v[112:113], v[4:5], v[6:7]
	v_mul_f64 v[4:5], v[160:161], s[16:17]
	v_fma_f64 v[6:7], s[50:51], v[168:169], v[4:5]
	v_mul_f64 v[76:77], v[172:173], s[20:21]
	v_add_f64 v[6:7], v[10:11], v[6:7]
	v_fma_f64 v[78:79], s[58:59], v[192:193], v[76:77]
	v_add_f64 v[6:7], v[78:79], v[6:7]
	v_mul_f64 v[78:79], v[176:177], s[22:23]
	v_fma_f64 v[80:81], s[44:45], v[212:213], v[78:79]
	v_add_f64 v[6:7], v[80:81], v[6:7]
	v_mul_f64 v[80:81], v[188:189], s[28:29]
	;; [unrolled: 3-line block ×5, first 2 shown]
	v_fma_f64 v[190:191], s[60:61], v[242:243], v[122:123]
	v_mul_f64 v[194:195], v[116:117], s[34:35]
	v_add_f64 v[6:7], v[190:191], v[6:7]
	v_mul_f64 v[190:191], v[118:119], s[36:37]
	v_fma_f64 v[116:117], s[16:17], v[150:151], v[194:195]
	v_add_f64 v[116:117], v[8:9], v[116:117]
	v_fma_f64 v[118:119], s[20:21], v[170:171], v[190:191]
	v_mul_f64 v[220:221], v[220:221], s[54:55]
	v_fmac_f64_e32 v[4:5], s[34:35], v[168:169]
	v_add_f64 v[116:117], v[118:119], v[116:117]
	v_fma_f64 v[118:119], s[22:23], v[174:175], v[220:221]
	v_mul_f64 v[228:229], v[228:229], s[42:43]
	v_fmac_f64_e32 v[76:77], s[36:37], v[192:193]
	v_add_f64 v[4:5], v[10:11], v[4:5]
	v_add_f64 v[116:117], v[118:119], v[116:117]
	v_fma_f64 v[118:119], s[28:29], v[186:187], v[228:229]
	v_mul_f64 v[230:231], v[230:231], s[56:57]
	v_fmac_f64_e32 v[78:79], s[54:55], v[212:213]
	v_add_f64 v[4:5], v[76:77], v[4:5]
	;; [unrolled: 5-line block ×5, first 2 shown]
	v_add_f64 v[116:117], v[118:119], v[116:117]
	v_fma_f64 v[118:119], s[40:41], v[246:247], v[236:237]
	v_mul_f64 v[240:241], v[248:249], s[46:47]
	v_mul_f64 v[82:83], v[170:171], s[14:15]
	v_add_f64 v[4:5], v[120:121], v[4:5]
	v_mul_f64 v[120:121], v[172:173], s[14:15]
	v_add_f64 v[118:119], v[118:119], v[6:7]
	v_fma_f64 v[6:7], s[26:27], v[216:217], v[240:241]
	v_mul_f64 v[76:77], v[150:151], s[0:1]
	v_mul_f64 v[80:81], v[150:151], s[14:15]
	v_fma_f64 v[150:151], v[150:151], s[16:17], -v[194:195]
	v_add_f64 v[120:121], v[126:127], v[120:121]
	v_accvgpr_read_b32 v127, a25
	v_add_f64 v[82:83], v[82:83], -v[124:125]
	v_accvgpr_read_b32 v125, a23
	v_add_f64 v[116:117], v[6:7], v[116:117]
	v_mul_f64 v[78:79], v[160:161], s[0:1]
	v_mul_f64 v[160:161], v[160:161], s[14:15]
	v_fma_f64 v[6:7], v[170:171], s[20:21], -v[190:191]
	v_add_f64 v[150:151], v[8:9], v[150:151]
	v_accvgpr_read_b32 v126, a24
	v_accvgpr_read_b32 v124, a22
	v_fmac_f64_e32 v[122:123], s[30:31], v[242:243]
	v_mul_f64 v[168:169], v[172:173], s[18:19]
	v_fma_f64 v[190:191], v[174:175], s[22:23], -v[220:221]
	v_add_f64 v[6:7], v[6:7], v[150:151]
	v_add_f64 v[132:133], v[132:133], v[160:161]
	v_add_f64 v[80:81], v[80:81], -v[128:129]
	v_add_f64 v[78:79], v[126:127], v[78:79]
	v_add_f64 v[76:77], v[76:77], -v[124:125]
	v_add_f64 v[4:5], v[122:123], v[4:5]
	v_mul_f64 v[122:123], v[170:171], s[18:19]
	v_mul_f64 v[172:173], v[176:177], s[16:17]
	;; [unrolled: 1-line block ×3, first 2 shown]
	v_add_f64 v[6:7], v[190:191], v[6:7]
	v_fma_f64 v[150:151], v[186:187], s[28:29], -v[228:229]
	v_add_f64 v[140:141], v[140:141], v[168:169]
	v_add_f64 v[132:133], v[10:11], v[132:133]
	;; [unrolled: 1-line block ×7, first 2 shown]
	v_mul_f64 v[170:171], v[174:175], s[16:17]
	v_mul_f64 v[174:175], v[174:175], s[20:21]
	;; [unrolled: 1-line block ×4, first 2 shown]
	v_add_f64 v[6:7], v[150:151], v[6:7]
	v_fma_f64 v[150:151], v[196:197], s[14:15], -v[230:231]
	v_add_f64 v[148:149], v[148:149], v[176:177]
	v_add_f64 v[132:133], v[140:141], v[132:133]
	v_add_f64 v[122:123], v[122:123], -v[134:135]
	v_add_f64 v[10:11], v[10:11], v[18:19]
	v_add_f64 v[8:9], v[8:9], v[16:17]
	v_mul_f64 v[192:193], v[186:187], s[18:19]
	v_mul_f64 v[186:187], v[186:187], s[22:23]
	v_add_f64 v[6:7], v[150:151], v[6:7]
	v_mul_f64 v[212:213], v[198:199], s[28:29]
	v_mul_f64 v[150:151], v[198:199], s[26:27]
	v_fma_f64 v[198:199], v[206:207], s[0:1], -v[232:233]
	v_add_f64 v[158:159], v[158:159], v[188:189]
	v_add_f64 v[132:133], v[148:149], v[132:133]
	v_add_f64 v[144:145], v[174:175], -v[144:145]
	v_add_f64 v[80:81], v[122:123], v[80:81]
	v_add_f64 v[10:11], v[10:11], v[22:23]
	;; [unrolled: 1-line block ×3, first 2 shown]
	v_fmac_f64_e32 v[236:237], s[46:47], v[246:247]
	v_mul_f64 v[194:195], v[196:197], s[28:29]
	v_mul_f64 v[196:197], v[196:197], s[26:27]
	v_add_f64 v[6:7], v[198:199], v[6:7]
	v_fma_f64 v[220:221], v[210:211], s[18:19], -v[234:235]
	v_mul_f64 v[224:225], v[208:209], s[20:21]
	v_mul_f64 v[208:209], v[208:209], s[28:29]
	;; [unrolled: 1-line block ×3, first 2 shown]
	v_add_f64 v[150:151], v[184:185], v[150:151]
	v_add_f64 v[132:133], v[158:159], v[132:133]
	v_add_f64 v[152:153], v[186:187], -v[152:153]
	v_add_f64 v[80:81], v[144:145], v[80:81]
	v_add_f64 v[10:11], v[10:11], v[26:27]
	;; [unrolled: 1-line block ×3, first 2 shown]
	v_mul_f64 v[198:199], v[206:207], s[20:21]
	v_add_f64 v[220:221], v[220:221], v[6:7]
	v_mul_f64 v[206:207], v[206:207], s[28:29]
	v_add_f64 v[6:7], v[236:237], v[4:5]
	v_fma_f64 v[4:5], v[216:217], s[26:27], -v[240:241]
	v_add_f64 v[222:223], v[222:223], v[226:227]
	v_mul_f64 v[226:227], v[202:203], s[26:27]
	v_mul_f64 v[202:203], v[202:203], s[16:17]
	v_add_f64 v[200:201], v[200:201], v[208:209]
	v_add_f64 v[132:133], v[150:151], v[132:133]
	v_add_f64 v[148:149], v[196:197], -v[166:167]
	v_add_f64 v[80:81], v[152:153], v[80:81]
	v_add_f64 v[10:11], v[10:11], v[30:31]
	;; [unrolled: 1-line block ×4, first 2 shown]
	v_mul_f64 v[220:221], v[210:211], s[26:27]
	v_mul_f64 v[210:211], v[210:211], s[16:17]
	v_add_f64 v[202:203], v[214:215], v[202:203]
	v_add_f64 v[132:133], v[200:201], v[132:133]
	v_add_f64 v[140:141], v[206:207], -v[182:183]
	v_add_f64 v[80:81], v[148:149], v[80:81]
	v_add_f64 v[10:11], v[10:11], v[34:35]
	;; [unrolled: 1-line block ×3, first 2 shown]
	v_mul_f64 v[214:215], v[216:217], s[22:23]
	v_mul_f64 v[216:217], v[216:217], s[0:1]
	v_add_f64 v[132:133], v[202:203], v[132:133]
	v_add_f64 v[2:3], v[210:211], -v[2:3]
	v_add_f64 v[80:81], v[140:141], v[80:81]
	v_add_f64 v[10:11], v[10:11], v[38:39]
	v_add_f64 v[8:9], v[8:9], v[36:37]
	v_add_f64 v[150:151], v[222:223], v[132:133]
	v_add_f64 v[132:133], v[216:217], -v[204:205]
	v_add_f64 v[2:3], v[2:3], v[80:81]
	v_add_f64 v[10:11], v[10:11], v[42:43]
	;; [unrolled: 1-line block ×14, first 2 shown]
	v_add_f64 v[126:127], v[170:171], -v[130:131]
	v_add_f64 v[76:77], v[82:83], v[76:77]
	v_add_f64 v[10:11], v[10:11], v[54:55]
	;; [unrolled: 1-line block ×4, first 2 shown]
	v_add_f64 v[122:123], v[192:193], -v[138:139]
	v_add_f64 v[76:77], v[126:127], v[76:77]
	v_add_f64 v[10:11], v[10:11], v[58:59]
	;; [unrolled: 1-line block ×3, first 2 shown]
	v_accvgpr_read_b32 v233, a3
	v_add_f64 v[80:81], v[162:163], v[224:225]
	v_add_f64 v[120:121], v[194:195], -v[146:147]
	v_add_f64 v[76:77], v[122:123], v[76:77]
	v_add_f64 v[10:11], v[10:11], v[62:63]
	;; [unrolled: 1-line block ×3, first 2 shown]
	v_accvgpr_read_b32 v232, a2
	v_mul_f64 v[218:219], v[218:219], s[22:23]
	v_add_f64 v[2:3], v[178:179], v[226:227]
	v_add_f64 v[78:79], v[80:81], v[78:79]
	v_add_f64 v[80:81], v[198:199], -v[156:157]
	v_add_f64 v[76:77], v[120:121], v[76:77]
	v_add_f64 v[10:11], v[10:11], v[66:67]
	;; [unrolled: 1-line block ×3, first 2 shown]
	v_accvgpr_read_b32 v253, a9
	v_accvgpr_read_b32 v235, a1
	v_add_f64 v[0:1], v[0:1], v[218:219]
	v_add_f64 v[2:3], v[2:3], v[78:79]
	v_add_f64 v[78:79], v[220:221], -v[164:165]
	v_add_f64 v[76:77], v[80:81], v[76:77]
	v_add_f64 v[10:11], v[10:11], v[70:71]
	;; [unrolled: 1-line block ×3, first 2 shown]
	v_mul_lo_u16_e32 v12, 17, v232
	v_accvgpr_read_b32 v252, a8
	v_accvgpr_read_b32 v251, a7
	;; [unrolled: 1-line block ×5, first 2 shown]
	v_add_f64 v[2:3], v[0:1], v[2:3]
	v_add_f64 v[0:1], v[214:215], -v[180:181]
	v_accvgpr_read_b32 v194, a0
	v_add_f64 v[76:77], v[78:79], v[76:77]
	v_add_f64 v[10:11], v[10:11], v[74:75]
	;; [unrolled: 1-line block ×3, first 2 shown]
	v_add_lshl_u32 v12, v235, v12, 4
	v_add_f64 v[0:1], v[0:1], v[76:77]
	ds_write_b128 v12, v[8:11]
	ds_write_b128 v12, v[0:3] offset:16
	ds_write_b128 v12, v[148:151] offset:32
	;; [unrolled: 1-line block ×16, first 2 shown]
.LBB0_7:
	s_or_b64 exec, exec, s[6:7]
	s_movk_i32 s14, 0xf1
	v_mul_lo_u16_sdwa v0, v232, s14 dst_sel:DWORD dst_unused:UNUSED_PAD src0_sel:BYTE_0 src1_sel:DWORD
	v_lshrrev_b16_e32 v12, 12, v0
	v_lshl_add_u64 v[110:111], v[232:233], 0, 51
	v_mul_lo_u16_e32 v0, 17, v12
	v_sub_u16_e32 v13, v232, v0
	v_mul_lo_u16_sdwa v0, v110, s14 dst_sel:DWORD dst_unused:UNUSED_PAD src0_sel:BYTE_0 src1_sel:DWORD
	s_mov_b64 s[0:1], 0x66
	v_lshrrev_b16_e32 v14, 12, v0
	v_lshl_add_u64 v[108:109], v[232:233], 0, s[0:1]
	v_mul_lo_u16_e32 v0, 17, v14
	v_sub_u16_e32 v15, v110, v0
	v_mov_b32_e32 v0, 5
	v_mul_lo_u16_sdwa v2, v108, s14 dst_sel:DWORD dst_unused:UNUSED_PAD src0_sel:BYTE_0 src1_sel:DWORD
	v_lshlrev_b32_sdwa v1, v0, v15 dst_sel:DWORD dst_unused:UNUSED_PAD src0_sel:DWORD src1_sel:BYTE_0
	v_lshrrev_b16_e32 v20, 12, v2
	s_load_dwordx4 s[4:7], s[4:5], 0x0
	s_waitcnt lgkmcnt(0)
	s_barrier
	global_load_dwordx4 v[32:35], v1, s[10:11] offset:16
	global_load_dwordx4 v[28:31], v1, s[10:11]
	v_lshlrev_b16_e32 v1, 1, v13
	v_mul_lo_u16_e32 v2, 17, v20
	v_sub_u16_e32 v21, v108, v2
	v_and_b32_e32 v1, 0xfe, v1
	s_mov_b64 s[0:1], 0x99
	v_lshlrev_b32_sdwa v2, v0, v21 dst_sel:DWORD dst_unused:UNUSED_PAD src0_sel:DWORD src1_sel:BYTE_0
	v_lshlrev_b32_e32 v1, 4, v1
	v_lshl_add_u64 v[112:113], v[232:233], 0, s[0:1]
	global_load_dwordx4 v[40:43], v2, s[10:11] offset:16
	global_load_dwordx4 v[36:39], v2, s[10:11]
	global_load_dwordx4 v[204:207], v1, s[10:11]
	global_load_dwordx4 v[196:199], v1, s[10:11] offset:16
	v_mul_lo_u16_sdwa v1, v112, s14 dst_sel:DWORD dst_unused:UNUSED_PAD src0_sel:BYTE_0 src1_sel:DWORD
	v_lshrrev_b16_e32 v22, 12, v1
	v_mul_lo_u16_e32 v1, 17, v22
	v_sub_u16_e32 v23, v112, v1
	s_mov_b64 s[0:1], 0xcc
	v_lshlrev_b32_sdwa v1, v0, v23 dst_sel:DWORD dst_unused:UNUSED_PAD src0_sel:DWORD src1_sel:BYTE_0
	v_lshl_add_u64 v[114:115], v[232:233], 0, s[0:1]
	global_load_dwordx4 v[200:203], v1, s[10:11] offset:16
	global_load_dwordx4 v[208:211], v1, s[10:11]
	v_mul_lo_u16_sdwa v1, v114, s14 dst_sel:DWORD dst_unused:UNUSED_PAD src0_sel:BYTE_0 src1_sel:DWORD
	v_lshrrev_b16_e32 v24, 12, v1
	v_mul_lo_u16_e32 v1, 17, v24
	v_sub_u16_e32 v25, v114, v1
	v_lshlrev_b32_sdwa v0, v0, v25 dst_sel:DWORD dst_unused:UNUSED_PAD src0_sel:DWORD src1_sel:BYTE_0
	global_load_dwordx4 v[216:219], v0, s[10:11]
	global_load_dwordx4 v[212:215], v0, s[10:11] offset:16
	v_add_lshl_u32 v44, v235, v232, 4
	ds_read_b128 v[0:3], v44
	ds_read_b128 v[60:63], v44 offset:816
	ds_read_b128 v[4:7], v44 offset:8160
	;; [unrolled: 1-line block ×14, first 2 shown]
	s_mov_b32 s0, 0xe8584caa
	s_mov_b32 s1, 0x3febb67a
	;; [unrolled: 1-line block ×4, first 2 shown]
	v_mad_legacy_u16 v12, v12, 51, v13
	v_and_b32_e32 v12, 0xff, v12
	v_add_lshl_u32 v192, v235, v12, 4
	s_waitcnt lgkmcnt(0)
	s_barrier
	v_lshlrev_b32_e32 v180, 6, v232
	s_movk_i32 s16, 0xa1
	s_mov_b32 s18, 0x134454ff
	s_mov_b32 s19, 0x3fee6f0e
	;; [unrolled: 1-line block ×7, first 2 shown]
	v_mov_b32_e32 v181, 0
	v_lshl_add_u32 v45, v232, 4, v236
	s_waitcnt vmcnt(9)
	v_mul_f64 v[46:47], v[10:11], v[34:35]
	v_mul_f64 v[96:97], v[8:9], v[34:35]
	v_fma_f64 v[46:47], v[8:9], v[32:33], -v[46:47]
	s_waitcnt vmcnt(8)
	v_mul_f64 v[16:17], v[66:67], v[30:31]
	v_mul_f64 v[18:19], v[64:65], v[30:31]
	v_fma_f64 v[16:17], v[64:65], v[28:29], -v[16:17]
	v_fmac_f64_e32 v[18:19], v[66:67], v[28:29]
	v_fmac_f64_e32 v[96:97], v[10:11], v[32:33]
	s_waitcnt vmcnt(7)
	v_mul_f64 v[10:11], v[74:75], v[42:43]
	s_waitcnt vmcnt(6)
	v_mul_f64 v[8:9], v[70:71], v[38:39]
	;; [unrolled: 2-line block ×3, first 2 shown]
	v_mul_f64 v[98:99], v[68:69], v[38:39]
	v_mul_f64 v[102:103], v[4:5], v[198:199]
	v_fma_f64 v[104:105], v[68:69], v[36:37], -v[8:9]
	v_fma_f64 v[68:69], v[4:5], v[196:197], -v[100:101]
	v_mul_f64 v[64:65], v[82:83], v[206:207]
	v_mul_f64 v[66:67], v[80:81], v[206:207]
	v_fma_f64 v[64:65], v[80:81], v[204:205], -v[64:65]
	s_waitcnt vmcnt(2)
	v_mul_f64 v[4:5], v[86:87], v[210:211]
	v_fma_f64 v[100:101], v[84:85], v[208:209], -v[4:5]
	v_mul_f64 v[106:107], v[84:85], v[210:211]
	v_mul_f64 v[4:5], v[78:79], v[202:203]
	v_fmac_f64_e32 v[106:107], v[86:87], v[208:209]
	v_fma_f64 v[86:87], v[76:77], v[200:201], -v[4:5]
	s_waitcnt vmcnt(1)
	v_mul_f64 v[4:5], v[90:91], v[218:219]
	v_fmac_f64_e32 v[66:67], v[82:83], v[204:205]
	v_fmac_f64_e32 v[102:103], v[6:7], v[196:197]
	v_fma_f64 v[118:119], v[88:89], v[216:217], -v[4:5]
	s_waitcnt vmcnt(0)
	v_mul_f64 v[4:5], v[94:95], v[214:215]
	v_add_f64 v[6:7], v[64:65], v[68:69]
	v_fma_f64 v[80:81], v[72:73], v[40:41], -v[10:11]
	v_fma_f64 v[122:123], v[92:93], v[212:213], -v[4:5]
	v_add_f64 v[4:5], v[0:1], v[64:65]
	v_fmac_f64_e32 v[0:1], -0.5, v[6:7]
	v_add_f64 v[6:7], v[66:67], -v[102:103]
	v_add_f64 v[10:11], v[66:67], v[102:103]
	v_fma_f64 v[8:9], s[0:1], v[6:7], v[0:1]
	v_fmac_f64_e32 v[0:1], s[14:15], v[6:7]
	v_add_f64 v[6:7], v[2:3], v[66:67]
	v_fmac_f64_e32 v[2:3], -0.5, v[10:11]
	v_add_f64 v[64:65], v[64:65], -v[68:69]
	v_add_f64 v[66:67], v[16:17], v[46:47]
	v_fma_f64 v[10:11], s[14:15], v[64:65], v[2:3]
	v_fmac_f64_e32 v[2:3], s[0:1], v[64:65]
	;; [unrolled: 6-line block ×3, first 2 shown]
	v_add_f64 v[66:67], v[62:63], v[18:19]
	v_add_f64 v[18:19], v[18:19], v[96:97]
	v_fmac_f64_e32 v[62:63], -0.5, v[18:19]
	v_add_f64 v[16:17], v[16:17], -v[46:47]
	v_fmac_f64_e32 v[98:99], v[70:71], v[36:37]
	v_mul_f64 v[82:83], v[72:73], v[42:43]
	v_fma_f64 v[70:71], s[14:15], v[16:17], v[62:63]
	v_fmac_f64_e32 v[62:63], s[0:1], v[16:17]
	v_add_f64 v[16:17], v[56:57], v[104:105]
	v_fmac_f64_e32 v[82:83], v[74:75], v[40:41]
	v_add_f64 v[72:73], v[16:17], v[80:81]
	v_add_f64 v[16:17], v[104:105], v[80:81]
	v_fmac_f64_e32 v[56:57], -0.5, v[16:17]
	v_add_f64 v[16:17], v[98:99], -v[82:83]
	v_mul_f64 v[116:117], v[76:77], v[202:203]
	v_fma_f64 v[76:77], s[0:1], v[16:17], v[56:57]
	v_fmac_f64_e32 v[56:57], s[14:15], v[16:17]
	v_add_f64 v[16:17], v[58:59], v[98:99]
	v_add_f64 v[74:75], v[16:17], v[82:83]
	;; [unrolled: 1-line block ×3, first 2 shown]
	v_fmac_f64_e32 v[58:59], -0.5, v[16:17]
	v_add_f64 v[16:17], v[104:105], -v[80:81]
	v_fmac_f64_e32 v[116:117], v[78:79], v[200:201]
	v_fma_f64 v[78:79], s[14:15], v[16:17], v[58:59]
	v_fmac_f64_e32 v[58:59], s[0:1], v[16:17]
	v_add_f64 v[16:17], v[52:53], v[100:101]
	v_add_f64 v[80:81], v[16:17], v[86:87]
	;; [unrolled: 1-line block ×3, first 2 shown]
	v_fmac_f64_e32 v[52:53], -0.5, v[16:17]
	v_add_f64 v[16:17], v[106:107], -v[116:117]
	v_add_f64 v[6:7], v[6:7], v[102:103]
	v_fma_f64 v[84:85], s[0:1], v[16:17], v[52:53]
	v_fmac_f64_e32 v[52:53], s[14:15], v[16:17]
	v_add_f64 v[16:17], v[54:55], v[106:107]
	v_add_f64 v[82:83], v[16:17], v[116:117]
	;; [unrolled: 1-line block ×3, first 2 shown]
	ds_write_b128 v192, v[4:7]
	ds_write_b128 v192, v[8:11] offset:272
	ds_write_b128 v192, v[0:3] offset:544
	v_mul_u32_u24_e32 v0, 51, v14
	v_fmac_f64_e32 v[54:55], -0.5, v[16:17]
	v_add_f64 v[16:17], v[100:101], -v[86:87]
	v_add_u32_sdwa v0, v0, v15 dst_sel:DWORD dst_unused:UNUSED_PAD src0_sel:DWORD src1_sel:BYTE_0
	v_mul_f64 v[120:121], v[88:89], v[218:219]
	v_mul_f64 v[124:125], v[92:93], v[214:215]
	v_fma_f64 v[86:87], s[14:15], v[16:17], v[54:55]
	v_fmac_f64_e32 v[54:55], s[0:1], v[16:17]
	v_add_f64 v[16:17], v[48:49], v[118:119]
	v_add_lshl_u32 v193, v235, v0, 4
	v_mul_u32_u24_e32 v0, 51, v20
	v_fmac_f64_e32 v[120:121], v[90:91], v[216:217]
	v_fmac_f64_e32 v[124:125], v[94:95], v[212:213]
	v_add_f64 v[88:89], v[16:17], v[122:123]
	v_add_f64 v[16:17], v[118:119], v[122:123]
	v_add_u32_sdwa v0, v0, v21 dst_sel:DWORD dst_unused:UNUSED_PAD src0_sel:DWORD src1_sel:BYTE_0
	v_fmac_f64_e32 v[48:49], -0.5, v[16:17]
	v_add_f64 v[16:17], v[120:121], -v[124:125]
	v_add_lshl_u32 v220, v235, v0, 4
	v_mul_u32_u24_e32 v0, 51, v22
	v_add_f64 v[64:65], v[64:65], v[46:47]
	v_add_f64 v[66:67], v[66:67], v[96:97]
	v_fma_f64 v[92:93], s[0:1], v[16:17], v[48:49]
	v_fmac_f64_e32 v[48:49], s[14:15], v[16:17]
	v_add_f64 v[16:17], v[50:51], v[120:121]
	v_add_u32_sdwa v0, v0, v23 dst_sel:DWORD dst_unused:UNUSED_PAD src0_sel:DWORD src1_sel:BYTE_0
	v_add_f64 v[90:91], v[16:17], v[124:125]
	v_add_f64 v[16:17], v[120:121], v[124:125]
	ds_write_b128 v193, v[64:67]
	ds_write_b128 v193, v[68:71] offset:272
	ds_write_b128 v193, v[60:63] offset:544
	ds_write_b128 v220, v[72:75]
	ds_write_b128 v220, v[76:79] offset:272
	ds_write_b128 v220, v[56:59] offset:544
	v_add_lshl_u32 v76, v235, v0, 4
	v_mul_u32_u24_e32 v0, 51, v24
	v_fmac_f64_e32 v[50:51], -0.5, v[16:17]
	v_add_f64 v[16:17], v[118:119], -v[122:123]
	v_add_u32_sdwa v0, v0, v25 dst_sel:DWORD dst_unused:UNUSED_PAD src0_sel:DWORD src1_sel:BYTE_0
	v_fma_f64 v[94:95], s[14:15], v[16:17], v[50:51]
	v_fmac_f64_e32 v[50:51], s[0:1], v[16:17]
	v_add_lshl_u32 v77, v235, v0, 4
	ds_write_b128 v76, v[80:83]
	ds_write_b128 v76, v[84:87] offset:272
	ds_write_b128 v76, v[52:55] offset:544
	ds_write_b128 v77, v[88:91]
	ds_write_b128 v77, v[92:95] offset:272
	ds_write_b128 v77, v[48:51] offset:544
	s_waitcnt lgkmcnt(0)
	s_barrier
	global_load_dwordx4 v[60:63], v180, s[10:11] offset:544
	global_load_dwordx4 v[56:59], v180, s[10:11] offset:560
	;; [unrolled: 1-line block ×4, first 2 shown]
	v_mul_lo_u16_sdwa v0, v108, s16 dst_sel:DWORD dst_unused:UNUSED_PAD src0_sel:BYTE_0 src1_sel:DWORD
	v_lshrrev_b16_e32 v0, 13, v0
	v_mul_lo_u16_e32 v0, 51, v0
	v_sub_u16_e32 v0, v108, v0
	v_and_b32_e32 v12, 0xff, v0
	v_lshlrev_b32_e32 v0, 6, v12
	global_load_dwordx4 v[242:245], v0, s[10:11] offset:544
	global_load_dwordx4 v[238:241], v0, s[10:11] offset:560
	;; [unrolled: 1-line block ×4, first 2 shown]
	ds_read_b128 v[88:91], v44
	ds_read_b128 v[84:87], v44 offset:816
	ds_read_b128 v[2:5], v44 offset:4896
	;; [unrolled: 1-line block ×14, first 2 shown]
	s_mov_b32 s16, 0x4755a5e
	s_mov_b32 s17, 0x3fe2cf23
	;; [unrolled: 1-line block ×3, first 2 shown]
	v_lshl_add_u64 v[0:1], s[10:11], 0, v[180:181]
	v_add_lshl_u32 v221, v235, v12, 4
	s_waitcnt lgkmcnt(0)
	s_barrier
	s_waitcnt vmcnt(7)
	v_mul_f64 v[10:11], v[102:103], v[62:63]
	v_fma_f64 v[16:17], v[100:101], v[60:61], -v[10:11]
	s_waitcnt vmcnt(6)
	v_mul_f64 v[10:11], v[4:5], v[58:59]
	v_fma_f64 v[140:141], v[2:3], v[56:57], -v[10:11]
	v_mul_f64 v[142:143], v[2:3], v[58:59]
	s_waitcnt vmcnt(5)
	v_mul_f64 v[2:3], v[122:123], v[54:55]
	v_mul_f64 v[18:19], v[100:101], v[62:63]
	v_fma_f64 v[144:145], v[120:121], v[52:53], -v[2:3]
	s_waitcnt vmcnt(4)
	v_mul_f64 v[2:3], v[94:95], v[50:51]
	v_fmac_f64_e32 v[18:19], v[102:103], v[60:61]
	v_mul_f64 v[146:147], v[120:121], v[54:55]
	v_fma_f64 v[102:103], v[92:93], v[48:49], -v[2:3]
	v_mul_f64 v[2:3], v[106:107], v[62:63]
	v_fmac_f64_e32 v[146:147], v[122:123], v[52:53]
	v_mul_f64 v[122:123], v[92:93], v[50:51]
	v_fma_f64 v[148:149], v[104:105], v[60:61], -v[2:3]
	v_mul_f64 v[2:3], v[8:9], v[58:59]
	v_add_f64 v[92:93], v[88:89], v[16:17]
	v_fma_f64 v[152:153], v[6:7], v[56:57], -v[2:3]
	v_mul_f64 v[2:3], v[130:131], v[54:55]
	v_add_f64 v[92:93], v[92:93], v[140:141]
	;; [unrolled: 3-line block ×3, first 2 shown]
	v_fmac_f64_e32 v[122:123], v[94:95], v[48:49]
	v_fma_f64 v[160:161], v[96:97], v[48:49], -v[2:3]
	v_mul_f64 v[162:163], v[96:97], v[50:51]
	v_add_f64 v[96:97], v[92:93], v[102:103]
	v_add_f64 v[92:93], v[140:141], v[144:145]
	v_fmac_f64_e32 v[142:143], v[4:5], v[56:57]
	v_mul_f64 v[150:151], v[104:105], v[62:63]
	v_fma_f64 v[92:93], -0.5, v[92:93], v[88:89]
	v_add_f64 v[94:95], v[18:19], -v[122:123]
	v_fmac_f64_e32 v[150:151], v[106:107], v[60:61]
	v_fmac_f64_e32 v[162:163], v[98:99], v[48:49]
	v_fma_f64 v[100:101], s[18:19], v[94:95], v[92:93]
	v_add_f64 v[98:99], v[142:143], -v[146:147]
	v_add_f64 v[104:105], v[16:17], -v[140:141]
	;; [unrolled: 1-line block ×3, first 2 shown]
	v_fmac_f64_e32 v[92:93], s[22:23], v[94:95]
	v_fmac_f64_e32 v[100:101], s[16:17], v[98:99]
	v_add_f64 v[104:105], v[104:105], v[106:107]
	v_fmac_f64_e32 v[92:93], s[24:25], v[98:99]
	v_fmac_f64_e32 v[100:101], s[20:21], v[104:105]
	;; [unrolled: 1-line block ×3, first 2 shown]
	v_add_f64 v[104:105], v[16:17], v[102:103]
	v_fmac_f64_e32 v[88:89], -0.5, v[104:105]
	v_fma_f64 v[104:105], s[22:23], v[98:99], v[88:89]
	v_fmac_f64_e32 v[88:89], s[18:19], v[98:99]
	v_fmac_f64_e32 v[104:105], s[16:17], v[94:95]
	;; [unrolled: 1-line block ×3, first 2 shown]
	v_add_f64 v[94:95], v[90:91], v[18:19]
	v_add_f64 v[94:95], v[94:95], v[142:143]
	s_waitcnt vmcnt(3)
	v_mul_f64 v[2:3], v[118:119], v[244:245]
	s_waitcnt vmcnt(2)
	v_mul_f64 v[4:5], v[126:127], v[240:241]
	v_add_f64 v[94:95], v[94:95], v[146:147]
	v_fma_f64 v[10:11], v[116:117], v[242:243], -v[2:3]
	v_mul_f64 v[2:3], v[116:117], v[244:245]
	v_fma_f64 v[116:117], v[124:125], v[238:239], -v[4:5]
	v_mul_f64 v[4:5], v[124:125], v[240:241]
	v_add_f64 v[106:107], v[140:141], -v[16:17]
	v_add_f64 v[124:125], v[144:145], -v[102:103]
	v_add_f64 v[98:99], v[94:95], v[122:123]
	v_add_f64 v[94:95], v[142:143], v[146:147]
	;; [unrolled: 1-line block ×3, first 2 shown]
	v_fma_f64 v[94:95], -0.5, v[94:95], v[90:91]
	v_add_f64 v[16:17], v[16:17], -v[102:103]
	v_fmac_f64_e32 v[4:5], v[126:127], v[238:239]
	v_fmac_f64_e32 v[104:105], s[20:21], v[106:107]
	;; [unrolled: 1-line block ×3, first 2 shown]
	v_fma_f64 v[102:103], s[22:23], v[16:17], v[94:95]
	v_add_f64 v[124:125], v[140:141], -v[144:145]
	v_add_f64 v[106:107], v[18:19], -v[142:143]
	;; [unrolled: 1-line block ×3, first 2 shown]
	v_fmac_f64_e32 v[94:95], s[18:19], v[16:17]
	v_fmac_f64_e32 v[102:103], s[24:25], v[124:125]
	v_add_f64 v[106:107], v[106:107], v[126:127]
	v_fmac_f64_e32 v[94:95], s[16:17], v[124:125]
	v_fmac_f64_e32 v[102:103], s[20:21], v[106:107]
	;; [unrolled: 1-line block ×3, first 2 shown]
	v_add_f64 v[106:107], v[18:19], v[122:123]
	v_fmac_f64_e32 v[90:91], -0.5, v[106:107]
	v_fma_f64 v[106:107], s[18:19], v[124:125], v[90:91]
	v_fmac_f64_e32 v[90:91], s[22:23], v[124:125]
	v_fmac_f64_e32 v[106:107], s[24:25], v[16:17]
	;; [unrolled: 1-line block ×3, first 2 shown]
	v_add_f64 v[16:17], v[84:85], v[148:149]
	v_add_f64 v[16:17], v[16:17], v[152:153]
	v_add_f64 v[18:19], v[142:143], -v[18:19]
	v_add_f64 v[122:123], v[146:147], -v[122:123]
	v_add_f64 v[16:17], v[16:17], v[156:157]
	v_mul_f64 v[154:155], v[6:7], v[58:59]
	v_mul_f64 v[158:159], v[128:129], v[54:55]
	v_add_f64 v[18:19], v[18:19], v[122:123]
	v_add_f64 v[122:123], v[16:17], v[160:161]
	;; [unrolled: 1-line block ×3, first 2 shown]
	v_fmac_f64_e32 v[154:155], v[8:9], v[56:57]
	v_fmac_f64_e32 v[158:159], v[130:131], v[52:53]
	v_fma_f64 v[126:127], -0.5, v[16:17], v[84:85]
	v_add_f64 v[16:17], v[150:151], -v[162:163]
	v_fmac_f64_e32 v[106:107], s[20:21], v[18:19]
	v_fmac_f64_e32 v[90:91], s[20:21], v[18:19]
	v_fma_f64 v[130:131], s[18:19], v[16:17], v[126:127]
	v_add_f64 v[18:19], v[154:155], -v[158:159]
	v_add_f64 v[124:125], v[148:149], -v[152:153]
	;; [unrolled: 1-line block ×3, first 2 shown]
	v_fmac_f64_e32 v[126:127], s[22:23], v[16:17]
	v_fmac_f64_e32 v[130:131], s[16:17], v[18:19]
	v_add_f64 v[124:125], v[124:125], v[128:129]
	v_fmac_f64_e32 v[126:127], s[24:25], v[18:19]
	s_waitcnt vmcnt(1)
	v_mul_f64 v[6:7], v[134:135], v[228:229]
	v_fmac_f64_e32 v[130:131], s[20:21], v[124:125]
	v_fmac_f64_e32 v[126:127], s[20:21], v[124:125]
	v_add_f64 v[124:125], v[148:149], v[160:161]
	v_fmac_f64_e32 v[2:3], v[118:119], v[242:243]
	v_fma_f64 v[118:119], v[132:133], v[226:227], -v[6:7]
	v_mul_f64 v[6:7], v[132:133], v[228:229]
	v_fmac_f64_e32 v[84:85], -0.5, v[124:125]
	v_fmac_f64_e32 v[6:7], v[134:135], v[226:227]
	v_fma_f64 v[134:135], s[22:23], v[18:19], v[84:85]
	v_fmac_f64_e32 v[84:85], s[18:19], v[18:19]
	v_fmac_f64_e32 v[134:135], s[16:17], v[16:17]
	;; [unrolled: 1-line block ×3, first 2 shown]
	v_add_f64 v[16:17], v[86:87], v[150:151]
	v_add_f64 v[124:125], v[152:153], -v[148:149]
	v_add_f64 v[128:129], v[156:157], -v[160:161]
	v_add_f64 v[16:17], v[16:17], v[154:155]
	v_add_f64 v[124:125], v[124:125], v[128:129]
	;; [unrolled: 1-line block ×3, first 2 shown]
	s_waitcnt vmcnt(0)
	v_mul_f64 v[8:9], v[138:139], v[224:225]
	v_fmac_f64_e32 v[134:135], s[20:21], v[124:125]
	v_fmac_f64_e32 v[84:85], s[20:21], v[124:125]
	v_add_f64 v[124:125], v[16:17], v[162:163]
	v_add_f64 v[16:17], v[154:155], v[158:159]
	v_fma_f64 v[120:121], v[136:137], v[222:223], -v[8:9]
	v_mul_f64 v[8:9], v[136:137], v[224:225]
	v_fma_f64 v[128:129], -0.5, v[16:17], v[86:87]
	v_add_f64 v[16:17], v[148:149], -v[160:161]
	v_fmac_f64_e32 v[8:9], v[138:139], v[222:223]
	v_fma_f64 v[132:133], s[22:23], v[16:17], v[128:129]
	v_add_f64 v[18:19], v[152:153], -v[156:157]
	v_add_f64 v[136:137], v[150:151], -v[154:155]
	;; [unrolled: 1-line block ×3, first 2 shown]
	v_fmac_f64_e32 v[128:129], s[18:19], v[16:17]
	v_fmac_f64_e32 v[132:133], s[24:25], v[18:19]
	v_add_f64 v[136:137], v[136:137], v[138:139]
	v_fmac_f64_e32 v[128:129], s[16:17], v[18:19]
	v_fmac_f64_e32 v[132:133], s[20:21], v[136:137]
	;; [unrolled: 1-line block ×3, first 2 shown]
	v_add_f64 v[136:137], v[150:151], v[162:163]
	v_fmac_f64_e32 v[86:87], -0.5, v[136:137]
	v_fma_f64 v[136:137], s[18:19], v[18:19], v[86:87]
	v_fmac_f64_e32 v[86:87], s[22:23], v[18:19]
	v_fmac_f64_e32 v[136:137], s[24:25], v[16:17]
	;; [unrolled: 1-line block ×3, first 2 shown]
	v_add_f64 v[16:17], v[80:81], v[10:11]
	v_add_f64 v[138:139], v[154:155], -v[150:151]
	v_add_f64 v[140:141], v[158:159], -v[162:163]
	v_add_f64 v[16:17], v[16:17], v[116:117]
	v_add_f64 v[138:139], v[138:139], v[140:141]
	;; [unrolled: 1-line block ×3, first 2 shown]
	v_fmac_f64_e32 v[136:137], s[20:21], v[138:139]
	v_fmac_f64_e32 v[86:87], s[20:21], v[138:139]
	v_add_f64 v[138:139], v[16:17], v[120:121]
	v_add_f64 v[16:17], v[116:117], v[118:119]
	v_fma_f64 v[142:143], -0.5, v[16:17], v[80:81]
	v_add_f64 v[16:17], v[2:3], -v[8:9]
	v_fma_f64 v[146:147], s[18:19], v[16:17], v[142:143]
	v_add_f64 v[18:19], v[4:5], -v[6:7]
	v_add_f64 v[140:141], v[10:11], -v[116:117]
	;; [unrolled: 1-line block ×3, first 2 shown]
	v_fmac_f64_e32 v[142:143], s[22:23], v[16:17]
	v_fmac_f64_e32 v[146:147], s[16:17], v[18:19]
	v_add_f64 v[140:141], v[140:141], v[144:145]
	v_fmac_f64_e32 v[142:143], s[24:25], v[18:19]
	v_fmac_f64_e32 v[146:147], s[20:21], v[140:141]
	;; [unrolled: 1-line block ×3, first 2 shown]
	v_add_f64 v[140:141], v[10:11], v[120:121]
	v_fmac_f64_e32 v[80:81], -0.5, v[140:141]
	v_fma_f64 v[150:151], s[22:23], v[18:19], v[80:81]
	v_fmac_f64_e32 v[80:81], s[18:19], v[18:19]
	v_fmac_f64_e32 v[150:151], s[16:17], v[16:17]
	;; [unrolled: 1-line block ×3, first 2 shown]
	v_add_f64 v[16:17], v[82:83], v[2:3]
	v_add_f64 v[140:141], v[116:117], -v[10:11]
	v_add_f64 v[144:145], v[118:119], -v[120:121]
	v_add_f64 v[16:17], v[16:17], v[4:5]
	v_add_f64 v[140:141], v[140:141], v[144:145]
	;; [unrolled: 1-line block ×3, first 2 shown]
	v_fmac_f64_e32 v[150:151], s[20:21], v[140:141]
	v_fmac_f64_e32 v[80:81], s[20:21], v[140:141]
	v_add_f64 v[140:141], v[16:17], v[8:9]
	v_add_f64 v[16:17], v[4:5], v[6:7]
	v_fma_f64 v[144:145], -0.5, v[16:17], v[82:83]
	v_add_f64 v[10:11], v[10:11], -v[120:121]
	v_fma_f64 v[148:149], s[22:23], v[10:11], v[144:145]
	v_add_f64 v[16:17], v[116:117], -v[118:119]
	v_add_f64 v[18:19], v[2:3], -v[4:5]
	;; [unrolled: 1-line block ×3, first 2 shown]
	v_fmac_f64_e32 v[144:145], s[18:19], v[10:11]
	v_fmac_f64_e32 v[148:149], s[24:25], v[16:17]
	v_add_f64 v[18:19], v[18:19], v[116:117]
	v_fmac_f64_e32 v[144:145], s[16:17], v[16:17]
	v_fmac_f64_e32 v[148:149], s[20:21], v[18:19]
	;; [unrolled: 1-line block ×3, first 2 shown]
	v_add_f64 v[18:19], v[2:3], v[8:9]
	v_fmac_f64_e32 v[82:83], -0.5, v[18:19]
	v_fma_f64 v[152:153], s[18:19], v[16:17], v[82:83]
	v_add_f64 v[2:3], v[4:5], -v[2:3]
	v_add_f64 v[4:5], v[6:7], -v[8:9]
	v_fmac_f64_e32 v[82:83], s[22:23], v[16:17]
	v_fmac_f64_e32 v[152:153], s[24:25], v[10:11]
	v_add_f64 v[2:3], v[2:3], v[4:5]
	v_fmac_f64_e32 v[82:83], s[16:17], v[10:11]
	v_fmac_f64_e32 v[152:153], s[20:21], v[2:3]
	;; [unrolled: 1-line block ×3, first 2 shown]
	v_lshlrev_b32_e32 v2, 5, v232
	v_sub_co_u32_e32 v0, vcc, v0, v2
	ds_write_b128 v44, v[96:99]
	ds_write_b128 v44, v[100:103] offset:816
	ds_write_b128 v44, v[104:107] offset:1632
	;; [unrolled: 1-line block ×9, first 2 shown]
	v_subbrev_co_u32_e32 v1, vcc, 0, v1, vcc
	ds_write_b128 v221, v[138:141] offset:8160
	ds_write_b128 v221, v[146:149] offset:8976
	;; [unrolled: 1-line block ×5, first 2 shown]
	s_waitcnt lgkmcnt(0)
	s_barrier
	global_load_dwordx4 v[84:87], v[0:1], off offset:3808
	global_load_dwordx4 v[80:83], v[0:1], off offset:3824
	v_lshlrev_b32_e32 v0, 5, v110
	global_load_dwordx4 v[92:95], v0, s[10:11] offset:3808
	global_load_dwordx4 v[88:91], v0, s[10:11] offset:3824
	v_lshlrev_b32_e32 v0, 5, v108
	global_load_dwordx4 v[100:103], v0, s[10:11] offset:3808
	global_load_dwordx4 v[96:99], v0, s[10:11] offset:3824
	;; [unrolled: 3-line block ×4, first 2 shown]
	ds_read_b128 v[120:123], v44
	ds_read_b128 v[124:127], v44 offset:816
	ds_read_b128 v[0:3], v44 offset:8160
	;; [unrolled: 1-line block ×14, first 2 shown]
	s_waitcnt vmcnt(9) lgkmcnt(4)
	v_mul_f64 v[16:17], v[150:151], v[86:87]
	v_fma_f64 v[16:17], v[148:149], v[84:85], -v[16:17]
	v_mul_f64 v[18:19], v[148:149], v[86:87]
	s_waitcnt vmcnt(8)
	v_mul_f64 v[148:149], v[2:3], v[82:83]
	v_fma_f64 v[148:149], v[0:1], v[80:81], -v[148:149]
	v_mul_f64 v[0:1], v[0:1], v[82:83]
	v_fmac_f64_e32 v[0:1], v[2:3], v[80:81]
	s_waitcnt vmcnt(7)
	v_mul_f64 v[2:3], v[10:11], v[94:95]
	v_fma_f64 v[2:3], v[8:9], v[92:93], -v[2:3]
	v_mul_f64 v[8:9], v[8:9], v[94:95]
	v_fmac_f64_e32 v[8:9], v[10:11], v[92:93]
	;; [unrolled: 5-line block ×3, first 2 shown]
	s_waitcnt vmcnt(5)
	v_mul_f64 v[6:7], v[130:131], v[102:103]
	v_fma_f64 v[6:7], v[128:129], v[100:101], -v[6:7]
	v_mul_f64 v[168:169], v[128:129], v[102:103]
	s_waitcnt vmcnt(4)
	v_mul_f64 v[128:129], v[138:139], v[98:99]
	v_fma_f64 v[170:171], v[136:137], v[96:97], -v[128:129]
	s_waitcnt vmcnt(3) lgkmcnt(2)
	v_mul_f64 v[128:129], v[158:159], v[110:111]
	v_fma_f64 v[174:175], v[156:157], v[108:109], -v[128:129]
	s_waitcnt vmcnt(2)
	v_mul_f64 v[128:129], v[146:147], v[106:107]
	v_fma_f64 v[178:179], v[144:145], v[104:105], -v[128:129]
	s_waitcnt vmcnt(1) lgkmcnt(1)
	v_mul_f64 v[128:129], v[162:163], v[118:119]
	v_fmac_f64_e32 v[18:19], v[150:151], v[84:85]
	v_fmac_f64_e32 v[168:169], v[130:131], v[100:101]
	v_fma_f64 v[184:185], v[160:161], v[116:117], -v[128:129]
	s_waitcnt vmcnt(0) lgkmcnt(0)
	v_mul_f64 v[128:129], v[166:167], v[114:115]
	v_add_f64 v[130:131], v[16:17], v[148:149]
	v_fma_f64 v[188:189], v[164:165], v[112:113], -v[128:129]
	v_add_f64 v[128:129], v[120:121], v[16:17]
	v_fmac_f64_e32 v[120:121], -0.5, v[130:131]
	v_add_f64 v[130:131], v[18:19], -v[0:1]
	v_mul_f64 v[172:173], v[136:137], v[98:99]
	v_fma_f64 v[136:137], s[0:1], v[130:131], v[120:121]
	v_fmac_f64_e32 v[120:121], s[14:15], v[130:131]
	v_add_f64 v[130:131], v[122:123], v[18:19]
	v_add_f64 v[130:131], v[130:131], v[0:1]
	;; [unrolled: 1-line block ×3, first 2 shown]
	v_fmac_f64_e32 v[122:123], -0.5, v[0:1]
	v_add_f64 v[0:1], v[16:17], -v[148:149]
	v_fmac_f64_e32 v[172:173], v[138:139], v[96:97]
	v_fma_f64 v[138:139], s[14:15], v[0:1], v[122:123]
	v_fmac_f64_e32 v[122:123], s[0:1], v[0:1]
	v_add_f64 v[0:1], v[124:125], v[2:3]
	v_mul_f64 v[182:183], v[144:145], v[106:107]
	v_add_f64 v[144:145], v[0:1], v[10:11]
	v_add_f64 v[0:1], v[2:3], v[10:11]
	v_fmac_f64_e32 v[124:125], -0.5, v[0:1]
	v_add_f64 v[0:1], v[8:9], -v[4:5]
	v_add_f64 v[128:129], v[128:129], v[148:149]
	v_fma_f64 v[148:149], s[0:1], v[0:1], v[124:125]
	v_fmac_f64_e32 v[124:125], s[14:15], v[0:1]
	v_add_f64 v[0:1], v[126:127], v[8:9]
	v_fmac_f64_e32 v[182:183], v[146:147], v[104:105]
	v_add_f64 v[146:147], v[0:1], v[4:5]
	v_add_f64 v[0:1], v[8:9], v[4:5]
	v_fmac_f64_e32 v[126:127], -0.5, v[0:1]
	v_add_f64 v[0:1], v[2:3], -v[10:11]
	v_fma_f64 v[150:151], s[14:15], v[0:1], v[126:127]
	v_fmac_f64_e32 v[126:127], s[0:1], v[0:1]
	v_add_f64 v[0:1], v[132:133], v[6:7]
	v_mul_f64 v[176:177], v[156:157], v[110:111]
	v_add_f64 v[156:157], v[0:1], v[170:171]
	v_add_f64 v[0:1], v[6:7], v[170:171]
	v_fmac_f64_e32 v[132:133], -0.5, v[0:1]
	v_add_f64 v[0:1], v[168:169], -v[172:173]
	v_mul_f64 v[186:187], v[160:161], v[118:119]
	v_fma_f64 v[160:161], s[0:1], v[0:1], v[132:133]
	v_fmac_f64_e32 v[132:133], s[14:15], v[0:1]
	v_add_f64 v[0:1], v[134:135], v[168:169]
	v_fmac_f64_e32 v[176:177], v[158:159], v[108:109]
	v_add_f64 v[158:159], v[0:1], v[172:173]
	v_add_f64 v[0:1], v[168:169], v[172:173]
	v_fmac_f64_e32 v[134:135], -0.5, v[0:1]
	v_add_f64 v[0:1], v[6:7], -v[170:171]
	v_fmac_f64_e32 v[186:187], v[162:163], v[116:117]
	v_fma_f64 v[162:163], s[14:15], v[0:1], v[134:135]
	v_fmac_f64_e32 v[134:135], s[0:1], v[0:1]
	v_add_f64 v[0:1], v[140:141], v[174:175]
	v_mul_f64 v[190:191], v[164:165], v[114:115]
	v_add_f64 v[164:165], v[0:1], v[178:179]
	v_add_f64 v[0:1], v[174:175], v[178:179]
	v_fmac_f64_e32 v[140:141], -0.5, v[0:1]
	v_add_f64 v[0:1], v[176:177], -v[182:183]
	v_fma_f64 v[168:169], s[0:1], v[0:1], v[140:141]
	v_fmac_f64_e32 v[140:141], s[14:15], v[0:1]
	v_add_f64 v[0:1], v[142:143], v[176:177]
	v_fmac_f64_e32 v[190:191], v[166:167], v[112:113]
	v_add_f64 v[166:167], v[0:1], v[182:183]
	v_add_f64 v[0:1], v[176:177], v[182:183]
	v_fmac_f64_e32 v[142:143], -0.5, v[0:1]
	v_add_f64 v[0:1], v[174:175], -v[178:179]
	v_fma_f64 v[170:171], s[14:15], v[0:1], v[142:143]
	v_fmac_f64_e32 v[142:143], s[0:1], v[0:1]
	v_add_f64 v[0:1], v[152:153], v[184:185]
	v_add_f64 v[172:173], v[0:1], v[188:189]
	;; [unrolled: 1-line block ×3, first 2 shown]
	v_fmac_f64_e32 v[152:153], -0.5, v[0:1]
	v_add_f64 v[0:1], v[186:187], -v[190:191]
	v_fma_f64 v[176:177], s[0:1], v[0:1], v[152:153]
	v_fmac_f64_e32 v[152:153], s[14:15], v[0:1]
	v_add_f64 v[0:1], v[154:155], v[186:187]
	v_add_f64 v[174:175], v[0:1], v[190:191]
	;; [unrolled: 1-line block ×3, first 2 shown]
	v_fmac_f64_e32 v[154:155], -0.5, v[0:1]
	v_add_f64 v[0:1], v[184:185], -v[188:189]
	v_lshlrev_b32_e32 v188, 4, v232
	v_fma_f64 v[178:179], s[14:15], v[0:1], v[154:155]
	v_fmac_f64_e32 v[154:155], s[0:1], v[0:1]
	v_add_u32_e32 v4, v188, v236
	ds_write_b128 v45, v[128:131]
	ds_write_b128 v45, v[136:139] offset:4080
	ds_write_b128 v45, v[120:123] offset:8160
	;; [unrolled: 1-line block ×14, first 2 shown]
	s_waitcnt lgkmcnt(0)
	s_barrier
	s_and_saveexec_b64 s[0:1], s[2:3]
	s_cbranch_execz .LBB0_9
; %bb.8:
	v_mov_b32_e32 v195, v181
	v_lshl_add_u64 v[0:1], s[8:9], 0, v[194:195]
	v_add_co_u32_e32 v10, vcc, 0x2000, v0
	ds_read_b128 v[6:9], v45
	s_nop 0
	v_addc_co_u32_e32 v11, vcc, 0, v1, vcc
	global_load_dwordx4 v[180:183], v[10:11], off offset:4048
	s_mov_b64 s[10:11], 0x2fd0
	v_lshl_add_u64 v[2:3], v[0:1], 0, s[10:11]
	s_movk_i32 s10, 0x4000
	s_waitcnt vmcnt(0) lgkmcnt(0)
	v_mul_f64 v[10:11], v[8:9], v[182:183]
	v_mul_f64 v[186:187], v[6:7], v[182:183]
	v_fma_f64 v[184:185], v[6:7], v[180:181], -v[10:11]
	v_fmac_f64_e32 v[186:187], v[8:9], v[180:181]
	global_load_dwordx4 v[180:183], v[2:3], off offset:720
	ds_read_b128 v[6:9], v45 offset:720
	ds_write_b128 v45, v[184:187]
	s_waitcnt vmcnt(0) lgkmcnt(1)
	v_mul_f64 v[10:11], v[8:9], v[182:183]
	v_mul_f64 v[186:187], v[6:7], v[182:183]
	v_fma_f64 v[184:185], v[6:7], v[180:181], -v[10:11]
	v_fmac_f64_e32 v[186:187], v[8:9], v[180:181]
	global_load_dwordx4 v[180:183], v[2:3], off offset:1440
	ds_read_b128 v[6:9], v45 offset:1440
	ds_write_b128 v45, v[184:187] offset:720
	s_waitcnt vmcnt(0) lgkmcnt(1)
	v_mul_f64 v[10:11], v[8:9], v[182:183]
	v_mul_f64 v[186:187], v[6:7], v[182:183]
	v_fma_f64 v[184:185], v[6:7], v[180:181], -v[10:11]
	v_fmac_f64_e32 v[186:187], v[8:9], v[180:181]
	global_load_dwordx4 v[180:183], v[2:3], off offset:2160
	ds_read_b128 v[6:9], v45 offset:2160
	ds_write_b128 v45, v[184:187] offset:1440
	;; [unrolled: 8-line block ×4, first 2 shown]
	s_waitcnt vmcnt(0) lgkmcnt(1)
	v_mul_f64 v[2:3], v[8:9], v[182:183]
	v_fma_f64 v[184:185], v[6:7], v[180:181], -v[2:3]
	v_add_co_u32_e32 v2, vcc, s10, v0
	v_mul_f64 v[186:187], v[6:7], v[182:183]
	s_nop 0
	v_addc_co_u32_e32 v3, vcc, 0, v1, vcc
	v_fmac_f64_e32 v[186:187], v[8:9], v[180:181]
	global_load_dwordx4 v[180:183], v[2:3], off offset:176
	ds_read_b128 v[6:9], v45 offset:4320
	ds_write_b128 v45, v[184:187] offset:3600
	s_movk_i32 s10, 0x5000
	s_waitcnt vmcnt(0) lgkmcnt(1)
	v_mul_f64 v[10:11], v[8:9], v[182:183]
	v_mul_f64 v[186:187], v[6:7], v[182:183]
	v_fma_f64 v[184:185], v[6:7], v[180:181], -v[10:11]
	v_fmac_f64_e32 v[186:187], v[8:9], v[180:181]
	global_load_dwordx4 v[180:183], v[2:3], off offset:896
	ds_read_b128 v[6:9], v45 offset:5040
	ds_write_b128 v45, v[184:187] offset:4320
	s_waitcnt vmcnt(0) lgkmcnt(1)
	v_mul_f64 v[10:11], v[8:9], v[182:183]
	v_mul_f64 v[186:187], v[6:7], v[182:183]
	v_fma_f64 v[184:185], v[6:7], v[180:181], -v[10:11]
	v_fmac_f64_e32 v[186:187], v[8:9], v[180:181]
	global_load_dwordx4 v[180:183], v[2:3], off offset:1616
	ds_read_b128 v[6:9], v45 offset:5760
	ds_write_b128 v45, v[184:187] offset:5040
	s_waitcnt vmcnt(0) lgkmcnt(1)
	v_mul_f64 v[10:11], v[8:9], v[182:183]
	v_mul_f64 v[186:187], v[6:7], v[182:183]
	v_fma_f64 v[184:185], v[6:7], v[180:181], -v[10:11]
	v_fmac_f64_e32 v[186:187], v[8:9], v[180:181]
	global_load_dwordx4 v[180:183], v[2:3], off offset:2336
	ds_read_b128 v[6:9], v45 offset:6480
	ds_write_b128 v45, v[184:187] offset:5760
	s_waitcnt vmcnt(0) lgkmcnt(1)
	v_mul_f64 v[10:11], v[8:9], v[182:183]
	v_mul_f64 v[186:187], v[6:7], v[182:183]
	v_fma_f64 v[184:185], v[6:7], v[180:181], -v[10:11]
	v_fmac_f64_e32 v[186:187], v[8:9], v[180:181]
	global_load_dwordx4 v[180:183], v[2:3], off offset:3056
	ds_read_b128 v[6:9], v45 offset:7200
	ds_write_b128 v45, v[184:187] offset:6480
	s_waitcnt vmcnt(0) lgkmcnt(1)
	v_mul_f64 v[10:11], v[8:9], v[182:183]
	v_mul_f64 v[186:187], v[6:7], v[182:183]
	v_fma_f64 v[184:185], v[6:7], v[180:181], -v[10:11]
	v_fmac_f64_e32 v[186:187], v[8:9], v[180:181]
	global_load_dwordx4 v[180:183], v[2:3], off offset:3776
	ds_read_b128 v[6:9], v45 offset:7920
	v_add_co_u32_e32 v10, vcc, s10, v0
	ds_write_b128 v45, v[184:187] offset:7200
	s_nop 0
	v_addc_co_u32_e32 v11, vcc, 0, v1, vcc
	s_waitcnt vmcnt(0) lgkmcnt(1)
	v_mul_f64 v[2:3], v[8:9], v[182:183]
	v_fma_f64 v[184:185], v[6:7], v[180:181], -v[2:3]
	global_load_dwordx4 v[0:3], v[10:11], off offset:400
	v_mul_f64 v[186:187], v[6:7], v[182:183]
	v_fmac_f64_e32 v[186:187], v[8:9], v[180:181]
	ds_read_b128 v[6:9], v45 offset:8640
	ds_write_b128 v45, v[184:187] offset:7920
	global_load_dwordx4 v[184:187], v[10:11], off offset:3280
	s_waitcnt vmcnt(1) lgkmcnt(1)
	v_mul_f64 v[16:17], v[8:9], v[2:3]
	v_mul_f64 v[182:183], v[6:7], v[2:3]
	v_fma_f64 v[180:181], v[6:7], v[0:1], -v[16:17]
	v_fmac_f64_e32 v[182:183], v[8:9], v[0:1]
	global_load_dwordx4 v[6:9], v[10:11], off offset:1120
	ds_read_b128 v[0:3], v45 offset:9360
	ds_write_b128 v45, v[180:183] offset:8640
	s_waitcnt vmcnt(0) lgkmcnt(1)
	v_mul_f64 v[16:17], v[2:3], v[8:9]
	v_mul_f64 v[182:183], v[0:1], v[8:9]
	v_fma_f64 v[180:181], v[0:1], v[6:7], -v[16:17]
	v_fmac_f64_e32 v[182:183], v[2:3], v[6:7]
	global_load_dwordx4 v[6:9], v[10:11], off offset:1840
	ds_read_b128 v[0:3], v45 offset:10080
	ds_write_b128 v45, v[180:183] offset:9360
	;; [unrolled: 8-line block ×3, first 2 shown]
	s_waitcnt vmcnt(0) lgkmcnt(1)
	v_mul_f64 v[16:17], v[2:3], v[8:9]
	v_mul_f64 v[182:183], v[0:1], v[8:9]
	v_fma_f64 v[180:181], v[0:1], v[6:7], -v[16:17]
	v_fmac_f64_e32 v[182:183], v[2:3], v[6:7]
	ds_write_b128 v45, v[180:183] offset:10800
	ds_read_b128 v[180:183], v45 offset:11520
	s_waitcnt lgkmcnt(0)
	v_mul_f64 v[0:1], v[182:183], v[186:187]
	v_mul_f64 v[2:3], v[180:181], v[186:187]
	v_fma_f64 v[0:1], v[180:181], v[184:185], -v[0:1]
	v_fmac_f64_e32 v[2:3], v[182:183], v[184:185]
	ds_write_b128 v45, v[0:3] offset:11520
.LBB0_9:
	s_or_b64 exec, exec, s[0:1]
	s_waitcnt lgkmcnt(0)
	s_barrier
	s_and_saveexec_b64 s[0:1], s[2:3]
	s_cbranch_execz .LBB0_11
; %bb.10:
	ds_read_b128 v[128:131], v45
	ds_read_b128 v[136:139], v45 offset:720
	ds_read_b128 v[120:123], v45 offset:1440
	;; [unrolled: 1-line block ×16, first 2 shown]
.LBB0_11:
	s_or_b64 exec, exec, s[0:1]
	v_add_u32_e32 v182, 0x660, v4
	v_add_u32_e32 v181, 0x990, v4
	;; [unrolled: 1-line block ×3, first 2 shown]
	s_waitcnt lgkmcnt(0)
	s_barrier
	s_and_saveexec_b64 s[0:1], s[2:3]
	s_cbranch_execz .LBB0_13
; %bb.12:
	v_accvgpr_write_b32 a66, v80
	v_accvgpr_write_b32 a67, v81
	;; [unrolled: 1-line block ×4, first 2 shown]
	v_accvgpr_read_b32 v83, a13
	v_accvgpr_read_b32 v81, a11
	v_accvgpr_read_b32 v80, a10
	v_accvgpr_write_b32 a26, v200
	s_mov_b32 s36, 0xacd6c6b4
	v_accvgpr_write_b32 a47, v76
	v_accvgpr_write_b32 a48, v77
	v_mov_b64_e32 v[76:77], v[250:251]
	v_accvgpr_write_b32 a22, v196
	s_mov_b32 s40, 0x5d8e7cdc
	v_accvgpr_read_b32 v82, a12
	v_accvgpr_write_b32 a27, v201
	v_accvgpr_write_b32 a28, v202
	;; [unrolled: 1-line block ×3, first 2 shown]
	v_add_f64 v[202:203], v[136:137], -v[80:81]
	s_mov_b32 s37, 0xbfc7851a
	v_accvgpr_write_b32 a50, v222
	s_mov_b32 s30, 0x7faef3
	v_mov_b64_e32 v[78:79], v[252:253]
	s_mov_b32 s34, 0x4363dd80
	v_accvgpr_write_b32 a23, v197
	v_accvgpr_write_b32 a24, v198
	v_accvgpr_write_b32 a25, v199
	v_add_f64 v[196:197], v[120:121], -v[76:77]
	s_mov_b32 s41, 0x3fd71e95
	s_mov_b32 s26, 0x370991
	v_accvgpr_write_b32 a51, v223
	v_accvgpr_write_b32 a52, v224
	;; [unrolled: 1-line block ×3, first 2 shown]
	v_mul_f64 v[222:223], v[202:203], s[36:37]
	v_add_f64 v[4:5], v[138:139], v[82:83]
	s_mov_b32 s31, 0xbfef7484
	s_mov_b32 s46, 0x2a9d6da3
	v_accvgpr_write_b32 a42, v216
	v_accvgpr_write_b32 a0, v194
	v_add_f64 v[194:195], v[144:145], -v[152:153]
	s_mov_b32 s35, 0xbfe0d888
	s_mov_b32 s24, 0x910ea3b9
	v_accvgpr_write_b32 a46, v220
	v_accvgpr_write_b32 a49, v221
	v_mul_f64 v[220:221], v[196:197], s[40:41]
	v_add_f64 v[0:1], v[122:123], v[78:79]
	s_mov_b32 s27, 0x3fedd6d0
	v_fma_f64 v[198:199], s[30:31], v[4:5], v[222:223]
	s_mov_b32 s28, 0x6c9a05f6
	v_add_f64 v[6:7], v[148:149], -v[176:177]
	s_mov_b32 s47, 0x3fe58eea
	v_accvgpr_write_b32 a43, v217
	v_accvgpr_write_b32 a44, v218
	v_accvgpr_write_b32 a45, v219
	s_mov_b32 s20, 0x75d4884
	v_mul_f64 v[218:219], v[194:195], s[34:35]
	v_add_f64 v[252:253], v[146:147], v[154:155]
	s_mov_b32 s25, 0xbfeb34fa
	v_accvgpr_write_b32 a3, v192
	v_accvgpr_write_b32 a5, v193
	v_fma_f64 v[192:193], s[26:27], v[0:1], v[220:221]
	v_add_f64 v[198:199], v[130:131], v[198:199]
	s_mov_b32 s38, 0x7c9e640b
	v_accvgpr_write_b32 a62, v242
	v_add_f64 v[2:3], v[124:125], -v[172:173]
	s_mov_b32 s29, 0xbfe9895b
	s_mov_b32 s18, 0x6ed5f1bb
	v_mul_f64 v[216:217], v[6:7], s[46:47]
	v_add_f64 v[248:249], v[150:151], v[178:179]
	s_mov_b32 s21, 0x3fe7a5f6
	v_fma_f64 v[190:191], s[24:25], v[252:253], v[218:219]
	v_add_f64 v[192:193], v[192:193], v[198:199]
	s_mov_b32 s22, 0x923c349f
	v_add_f64 v[254:255], v[156:157], -v[140:141]
	s_mov_b32 s39, 0x3feca52d
	v_accvgpr_write_b32 a63, v243
	v_accvgpr_write_b32 a64, v244
	;; [unrolled: 1-line block ×3, first 2 shown]
	s_mov_b32 s16, 0x2b2883cd
	v_mul_f64 v[184:185], v[2:3], s[28:29]
	v_add_f64 v[244:245], v[126:127], v[174:175]
	s_mov_b32 s19, 0xbfe348c8
	v_accvgpr_write_b32 a70, v188
	v_fma_f64 v[188:189], s[20:21], v[248:249], v[216:217]
	v_add_f64 v[190:191], v[190:191], v[192:193]
	s_mov_b32 s50, 0xeb564b22
	v_accvgpr_write_b32 a58, v238
	v_add_f64 v[250:251], v[160:161], -v[168:169]
	s_mov_b32 s23, 0xbfeec746
	s_mov_b32 s14, 0xc61f0d01
	v_accvgpr_write_b32 a71, v180
	v_accvgpr_write_b32 a72, v181
	v_mul_f64 v[180:181], v[254:255], s[38:39]
	v_add_f64 v[242:243], v[158:159], v[142:143]
	s_mov_b32 s17, 0x3fdc86fa
	v_fma_f64 v[186:187], s[18:19], v[244:245], v[184:185]
	v_add_f64 v[188:189], v[188:189], v[190:191]
	v_add_f64 v[246:247], v[132:133], -v[164:165]
	s_mov_b32 s51, 0x3fefdd0d
	v_accvgpr_write_b32 a59, v239
	v_accvgpr_write_b32 a60, v240
	;; [unrolled: 1-line block ×3, first 2 shown]
	s_mov_b32 s10, 0x3259b75e
	v_mul_f64 v[18:19], v[250:251], s[22:23]
	v_add_f64 v[240:241], v[162:163], v[170:171]
	s_mov_b32 s15, 0xbfd183b1
	v_accvgpr_write_b32 a73, v182
	v_fma_f64 v[182:183], s[16:17], v[242:243], v[180:181]
	v_add_f64 v[186:187], v[186:187], v[188:189]
	v_mul_f64 v[16:17], v[246:247], s[50:51]
	v_add_f64 v[238:239], v[134:135], v[166:167]
	s_mov_b32 s11, 0x3fb79ee6
	v_fma_f64 v[10:11], s[14:15], v[240:241], v[18:19]
	v_add_f64 v[182:183], v[182:183], v[186:187]
	v_accvgpr_write_b32 a38, v212
	v_fma_f64 v[8:9], s[10:11], v[238:239], v[16:17]
	v_add_f64 v[10:11], v[10:11], v[182:183]
	v_accvgpr_write_b32 a39, v213
	v_accvgpr_write_b32 a40, v214
	v_accvgpr_write_b32 a41, v215
	v_accvgpr_write_b32 a6, v32
	v_add_f64 v[214:215], v[138:139], -v[82:83]
	v_add_f64 v[14:15], v[8:9], v[10:11]
	v_accvgpr_write_b32 a34, v208
	v_accvgpr_write_b32 a10, v28
	v_add_f64 v[212:213], v[122:123], -v[78:79]
	v_accvgpr_write_b32 a7, v33
	v_accvgpr_write_b32 a8, v34
	;; [unrolled: 1-line block ×3, first 2 shown]
	v_add_f64 v[10:11], v[136:137], v[80:81]
	v_mul_f64 v[34:35], v[214:215], s[36:37]
	v_accvgpr_write_b32 a18, v36
	v_accvgpr_write_b32 a30, v204
	;; [unrolled: 1-line block ×5, first 2 shown]
	v_add_f64 v[208:209], v[146:147], -v[154:155]
	v_accvgpr_write_b32 a11, v29
	v_accvgpr_write_b32 a12, v30
	v_accvgpr_write_b32 a13, v31
	v_add_f64 v[8:9], v[120:121], v[76:77]
	v_mul_f64 v[30:31], v[212:213], s[40:41]
	v_accvgpr_write_b32 a19, v37
	v_accvgpr_write_b32 a20, v38
	;; [unrolled: 1-line block ×3, first 2 shown]
	v_fma_f64 v[36:37], v[10:11], s[30:31], -v[34:35]
	v_accvgpr_write_b32 a31, v205
	v_accvgpr_write_b32 a32, v206
	;; [unrolled: 1-line block ×3, first 2 shown]
	v_add_f64 v[206:207], v[150:151], -v[178:179]
	v_accvgpr_write_b32 a2, v232
	v_add_f64 v[232:233], v[144:145], v[152:153]
	v_mul_f64 v[26:27], v[208:209], s[34:35]
	v_fma_f64 v[32:33], v[8:9], s[26:27], -v[30:31]
	v_add_f64 v[36:37], v[128:129], v[36:37]
	v_add_f64 v[210:211], v[126:127], -v[174:175]
	v_add_f64 v[192:193], v[148:149], v[176:177]
	v_mul_f64 v[22:23], v[206:207], s[46:47]
	v_fma_f64 v[28:29], v[232:233], s[24:25], -v[26:27]
	v_add_f64 v[32:33], v[32:33], v[36:37]
	v_accvgpr_write_b32 a54, v226
	v_add_f64 v[204:205], v[158:159], -v[142:143]
	v_accvgpr_write_b32 a78, v236
	v_add_f64 v[236:237], v[124:125], v[172:173]
	v_mul_f64 v[46:47], v[210:211], s[28:29]
	v_fma_f64 v[24:25], v[192:193], s[20:21], -v[22:23]
	v_add_f64 v[28:29], v[28:29], v[32:33]
	v_fma_f64 v[38:39], v[4:5], s[30:31], -v[222:223]
	v_add_f64 v[200:201], v[162:163], -v[170:171]
	v_accvgpr_write_b32 a55, v227
	v_accvgpr_write_b32 a56, v228
	;; [unrolled: 1-line block ×3, first 2 shown]
	v_add_f64 v[190:191], v[156:157], v[140:141]
	v_mul_f64 v[228:229], v[204:205], s[38:39]
	v_fma_f64 v[20:21], v[236:237], s[18:19], -v[46:47]
	v_add_f64 v[24:25], v[24:25], v[28:29]
	v_fma_f64 v[36:37], v[0:1], s[26:27], -v[220:221]
	v_add_f64 v[38:39], v[130:131], v[38:39]
	v_add_f64 v[198:199], v[134:135], -v[166:167]
	v_add_f64 v[188:189], v[160:161], v[168:169]
	v_mul_f64 v[224:225], v[200:201], s[22:23]
	v_fma_f64 v[230:231], v[190:191], s[16:17], -v[228:229]
	v_add_f64 v[20:21], v[20:21], v[24:25]
	v_fma_f64 v[32:33], v[252:253], s[24:25], -v[218:219]
	v_add_f64 v[36:37], v[36:37], v[38:39]
	v_accvgpr_write_b32 a4, v234
	v_accvgpr_write_b32 a1, v235
	v_add_f64 v[234:235], v[132:133], v[164:165]
	v_mul_f64 v[182:183], v[198:199], s[50:51]
	v_fma_f64 v[226:227], v[188:189], s[14:15], -v[224:225]
	v_add_f64 v[20:21], v[230:231], v[20:21]
	v_fma_f64 v[28:29], v[248:249], s[20:21], -v[216:217]
	v_add_f64 v[32:33], v[32:33], v[36:37]
	;; [unrolled: 2-line block ×4, first 2 shown]
	v_add_f64 v[12:13], v[186:187], v[20:21]
	v_fma_f64 v[20:21], v[242:243], s[16:17], -v[180:181]
	v_add_f64 v[24:25], v[24:25], v[28:29]
	v_fma_f64 v[18:19], v[240:241], s[14:15], -v[18:19]
	v_add_f64 v[20:21], v[20:21], v[24:25]
	v_accvgpr_write_b32 a77, v15
	v_fma_f64 v[16:17], v[238:239], s[10:11], -v[16:17]
	v_add_f64 v[18:19], v[18:19], v[20:21]
	v_fmac_f64_e32 v[34:35], s[30:31], v[10:11]
	v_accvgpr_write_b32 a76, v14
	v_accvgpr_write_b32 a75, v13
	v_accvgpr_write_b32 a74, v12
	v_add_f64 v[14:15], v[16:17], v[18:19]
	v_fmac_f64_e32 v[30:31], s[26:27], v[8:9]
	v_add_f64 v[16:17], v[128:129], v[34:35]
	v_fmac_f64_e32 v[26:27], s[24:25], v[232:233]
	;; [unrolled: 2-line block ×7, first 2 shown]
	v_add_f64 v[16:17], v[224:225], v[16:17]
	v_add_f64 v[12:13], v[182:183], v[16:17]
	v_mul_f64 v[182:183], v[202:203], s[34:35]
	s_mov_b32 s45, 0xbfefdd0d
	s_mov_b32 s44, s50
	v_mul_f64 v[46:47], v[196:197], s[38:39]
	v_fma_f64 v[184:185], s[24:25], v[4:5], v[182:183]
	s_mov_b32 s57, 0x3fe9895b
	s_mov_b32 s56, s28
	v_mul_f64 v[36:37], v[194:195], s[44:45]
	v_fma_f64 v[180:181], s[16:17], v[0:1], v[46:47]
	v_add_f64 v[184:185], v[130:131], v[184:185]
	v_mul_f64 v[226:227], v[214:215], s[34:35]
	s_mov_b32 s43, 0xbfd71e95
	s_mov_b32 s42, s40
	v_mul_f64 v[32:33], v[6:7], s[56:57]
	v_fma_f64 v[38:39], s[10:11], v[252:253], v[36:37]
	v_add_f64 v[180:181], v[180:181], v[184:185]
	v_mul_f64 v[222:223], v[212:213], s[38:39]
	v_fma_f64 v[228:229], v[10:11], s[24:25], -v[226:227]
	v_mul_f64 v[28:29], v[2:3], s[42:43]
	v_fma_f64 v[34:35], s[18:19], v[248:249], v[32:33]
	v_add_f64 v[38:39], v[38:39], v[180:181]
	v_mul_f64 v[218:219], v[208:209], s[44:45]
	v_fma_f64 v[224:225], v[8:9], s[16:17], -v[222:223]
	v_add_f64 v[228:229], v[128:129], v[228:229]
	v_mul_f64 v[24:25], v[254:255], s[36:37]
	v_fma_f64 v[30:31], s[26:27], v[244:245], v[28:29]
	v_add_f64 v[34:35], v[34:35], v[38:39]
	v_mul_f64 v[186:187], v[206:207], s[56:57]
	v_fma_f64 v[220:221], v[232:233], s[10:11], -v[218:219]
	v_add_f64 v[224:225], v[224:225], v[228:229]
	;; [unrolled: 6-line block ×4, first 2 shown]
	v_accvgpr_write_b32 a83, v15
	v_fma_f64 v[18:19], s[14:15], v[238:239], v[16:17]
	v_add_f64 v[22:23], v[22:23], v[26:27]
	v_mul_f64 v[26:27], v[200:201], s[46:47]
	v_fma_f64 v[38:39], v[190:191], s[30:31], -v[34:35]
	v_add_f64 v[184:185], v[184:185], v[216:217]
	v_accvgpr_write_b32 a82, v14
	v_accvgpr_write_b32 a81, v13
	;; [unrolled: 1-line block ×3, first 2 shown]
	v_add_f64 v[14:15], v[18:19], v[22:23]
	v_mul_f64 v[18:19], v[198:199], s[22:23]
	v_fma_f64 v[30:31], v[188:189], s[20:21], -v[26:27]
	v_add_f64 v[38:39], v[38:39], v[184:185]
	v_fma_f64 v[22:23], v[234:235], s[14:15], -v[18:19]
	v_add_f64 v[30:31], v[30:31], v[38:39]
	v_add_f64 v[12:13], v[22:23], v[30:31]
	v_fma_f64 v[30:31], v[252:253], s[10:11], -v[36:37]
	v_fma_f64 v[36:37], v[4:5], s[24:25], -v[182:183]
	;; [unrolled: 1-line block ×6, first 2 shown]
	v_add_f64 v[36:37], v[130:131], v[36:37]
	v_add_f64 v[32:33], v[32:33], v[36:37]
	;; [unrolled: 1-line block ×5, first 2 shown]
	v_fma_f64 v[20:21], v[240:241], s[20:21], -v[20:21]
	v_add_f64 v[22:23], v[22:23], v[24:25]
	v_accvgpr_write_b32 a87, v15
	v_fma_f64 v[16:17], v[238:239], s[14:15], -v[16:17]
	v_add_f64 v[20:21], v[20:21], v[22:23]
	v_fmac_f64_e32 v[226:227], s[24:25], v[10:11]
	v_accvgpr_write_b32 a86, v14
	v_accvgpr_write_b32 a85, v13
	;; [unrolled: 1-line block ×3, first 2 shown]
	v_add_f64 v[14:15], v[16:17], v[20:21]
	v_fmac_f64_e32 v[222:223], s[16:17], v[8:9]
	v_add_f64 v[16:17], v[128:129], v[226:227]
	v_fmac_f64_e32 v[218:219], s[10:11], v[232:233]
	;; [unrolled: 2-line block ×3, first 2 shown]
	v_add_f64 v[16:17], v[218:219], v[16:17]
	s_mov_b32 s55, 0x3feec746
	s_mov_b32 s54, s22
	v_mul_f64 v[182:183], v[202:203], s[28:29]
	v_fmac_f64_e32 v[180:181], s[26:27], v[236:237]
	v_add_f64 v[16:17], v[186:187], v[16:17]
	v_mul_f64 v[46:47], v[196:197], s[54:55]
	v_fma_f64 v[184:185], s[18:19], v[4:5], v[182:183]
	v_add_f64 v[16:17], v[180:181], v[16:17]
	v_mul_f64 v[36:37], v[194:195], s[42:43]
	v_fma_f64 v[180:181], s[14:15], v[0:1], v[46:47]
	v_add_f64 v[184:185], v[130:131], v[184:185]
	v_mul_f64 v[226:227], v[214:215], s[28:29]
	v_fmac_f64_e32 v[34:35], s[30:31], v[190:191]
	v_mul_f64 v[32:33], v[6:7], s[34:35]
	v_fma_f64 v[38:39], s[26:27], v[252:253], v[36:37]
	v_add_f64 v[180:181], v[180:181], v[184:185]
	v_mul_f64 v[222:223], v[212:213], s[54:55]
	v_fma_f64 v[228:229], v[10:11], s[18:19], -v[226:227]
	v_add_f64 v[16:17], v[34:35], v[16:17]
	s_mov_b32 s49, 0xbfe58eea
	s_mov_b32 s48, s46
	v_mul_f64 v[28:29], v[2:3], s[50:51]
	v_fma_f64 v[34:35], s[24:25], v[248:249], v[32:33]
	v_add_f64 v[38:39], v[38:39], v[180:181]
	v_mul_f64 v[218:219], v[208:209], s[42:43]
	v_fma_f64 v[224:225], v[8:9], s[14:15], -v[222:223]
	v_add_f64 v[228:229], v[128:129], v[228:229]
	v_fmac_f64_e32 v[26:27], s[20:21], v[188:189]
	v_mul_f64 v[24:25], v[254:255], s[48:49]
	v_fma_f64 v[30:31], s[10:11], v[244:245], v[28:29]
	v_add_f64 v[34:35], v[34:35], v[38:39]
	v_mul_f64 v[186:187], v[206:207], s[34:35]
	v_fma_f64 v[220:221], v[232:233], s[26:27], -v[218:219]
	v_add_f64 v[224:225], v[224:225], v[228:229]
	v_fmac_f64_e32 v[18:19], s[14:15], v[234:235]
	v_add_f64 v[16:17], v[26:27], v[16:17]
	v_mul_f64 v[20:21], v[250:251], s[36:37]
	v_fma_f64 v[26:27], s[20:21], v[242:243], v[24:25]
	v_add_f64 v[30:31], v[30:31], v[34:35]
	v_mul_f64 v[180:181], v[210:211], s[50:51]
	v_fma_f64 v[216:217], v[192:193], s[24:25], -v[186:187]
	v_add_f64 v[220:221], v[220:221], v[224:225]
	v_add_f64 v[12:13], v[18:19], v[16:17]
	v_mul_f64 v[16:17], v[246:247], s[38:39]
	v_fma_f64 v[22:23], s[30:31], v[240:241], v[20:21]
	v_add_f64 v[26:27], v[26:27], v[30:31]
	v_mul_f64 v[34:35], v[204:205], s[48:49]
	v_fma_f64 v[184:185], v[236:237], s[10:11], -v[180:181]
	v_add_f64 v[216:217], v[216:217], v[220:221]
	v_accvgpr_write_b32 a91, v15
	v_fma_f64 v[18:19], s[16:17], v[238:239], v[16:17]
	v_add_f64 v[22:23], v[22:23], v[26:27]
	v_mul_f64 v[26:27], v[200:201], s[36:37]
	v_fma_f64 v[38:39], v[190:191], s[20:21], -v[34:35]
	v_add_f64 v[184:185], v[184:185], v[216:217]
	v_accvgpr_write_b32 a90, v14
	v_accvgpr_write_b32 a89, v13
	;; [unrolled: 1-line block ×3, first 2 shown]
	v_add_f64 v[14:15], v[18:19], v[22:23]
	v_mul_f64 v[18:19], v[198:199], s[38:39]
	v_fma_f64 v[30:31], v[188:189], s[30:31], -v[26:27]
	v_add_f64 v[38:39], v[38:39], v[184:185]
	v_fma_f64 v[22:23], v[234:235], s[16:17], -v[18:19]
	v_add_f64 v[30:31], v[30:31], v[38:39]
	v_add_f64 v[12:13], v[22:23], v[30:31]
	v_fma_f64 v[30:31], v[252:253], s[26:27], -v[36:37]
	v_fma_f64 v[36:37], v[4:5], s[18:19], -v[182:183]
	;; [unrolled: 1-line block ×6, first 2 shown]
	v_add_f64 v[36:37], v[130:131], v[36:37]
	v_add_f64 v[32:33], v[32:33], v[36:37]
	;; [unrolled: 1-line block ×5, first 2 shown]
	v_fma_f64 v[20:21], v[240:241], s[30:31], -v[20:21]
	v_add_f64 v[22:23], v[22:23], v[24:25]
	v_accvgpr_write_b32 a95, v15
	v_fma_f64 v[16:17], v[238:239], s[16:17], -v[16:17]
	v_add_f64 v[20:21], v[20:21], v[22:23]
	v_fmac_f64_e32 v[226:227], s[18:19], v[10:11]
	v_accvgpr_write_b32 a94, v14
	v_accvgpr_write_b32 a93, v13
	;; [unrolled: 1-line block ×3, first 2 shown]
	v_add_f64 v[14:15], v[16:17], v[20:21]
	v_fmac_f64_e32 v[222:223], s[14:15], v[8:9]
	v_add_f64 v[16:17], v[128:129], v[226:227]
	v_fmac_f64_e32 v[218:219], s[26:27], v[232:233]
	;; [unrolled: 2-line block ×3, first 2 shown]
	v_add_f64 v[16:17], v[218:219], v[16:17]
	s_mov_b32 s59, 0x3fe0d888
	s_mov_b32 s58, s34
	v_mul_f64 v[182:183], v[202:203], s[22:23]
	v_fmac_f64_e32 v[180:181], s[10:11], v[236:237]
	v_add_f64 v[16:17], v[186:187], v[16:17]
	v_mul_f64 v[46:47], v[196:197], s[58:59]
	v_fma_f64 v[184:185], s[14:15], v[4:5], v[182:183]
	v_add_f64 v[16:17], v[180:181], v[16:17]
	s_mov_b32 s53, 0xbfeca52d
	s_mov_b32 s52, s38
	v_mul_f64 v[36:37], v[194:195], s[46:47]
	v_fma_f64 v[180:181], s[24:25], v[0:1], v[46:47]
	v_add_f64 v[184:185], v[130:131], v[184:185]
	v_mul_f64 v[226:227], v[214:215], s[22:23]
	v_fmac_f64_e32 v[34:35], s[20:21], v[190:191]
	v_mul_f64 v[32:33], v[6:7], s[52:53]
	v_fma_f64 v[38:39], s[20:21], v[252:253], v[36:37]
	v_add_f64 v[180:181], v[180:181], v[184:185]
	v_mul_f64 v[222:223], v[212:213], s[58:59]
	v_fma_f64 v[228:229], v[10:11], s[14:15], -v[226:227]
	v_add_f64 v[16:17], v[34:35], v[16:17]
	v_mul_f64 v[28:29], v[2:3], s[36:37]
	v_fma_f64 v[34:35], s[16:17], v[248:249], v[32:33]
	v_add_f64 v[38:39], v[38:39], v[180:181]
	v_mul_f64 v[218:219], v[208:209], s[46:47]
	v_fma_f64 v[224:225], v[8:9], s[24:25], -v[222:223]
	v_add_f64 v[228:229], v[128:129], v[228:229]
	v_fmac_f64_e32 v[26:27], s[30:31], v[188:189]
	v_mul_f64 v[24:25], v[254:255], s[50:51]
	v_fma_f64 v[30:31], s[30:31], v[244:245], v[28:29]
	v_add_f64 v[34:35], v[34:35], v[38:39]
	v_mul_f64 v[216:217], v[206:207], s[52:53]
	v_fma_f64 v[220:221], v[232:233], s[20:21], -v[218:219]
	v_add_f64 v[224:225], v[224:225], v[228:229]
	v_fmac_f64_e32 v[18:19], s[16:17], v[234:235]
	v_add_f64 v[16:17], v[26:27], v[16:17]
	v_mul_f64 v[20:21], v[250:251], s[42:43]
	v_fma_f64 v[26:27], s[10:11], v[242:243], v[24:25]
	v_add_f64 v[30:31], v[30:31], v[34:35]
	v_mul_f64 v[180:181], v[210:211], s[36:37]
	v_fma_f64 v[186:187], v[192:193], s[16:17], -v[216:217]
	v_add_f64 v[220:221], v[220:221], v[224:225]
	v_add_f64 v[12:13], v[18:19], v[16:17]
	v_mul_f64 v[16:17], v[246:247], s[28:29]
	v_fma_f64 v[22:23], s[26:27], v[240:241], v[20:21]
	v_add_f64 v[26:27], v[26:27], v[30:31]
	v_mul_f64 v[34:35], v[204:205], s[50:51]
	v_fma_f64 v[184:185], v[236:237], s[30:31], -v[180:181]
	v_add_f64 v[186:187], v[186:187], v[220:221]
	v_accvgpr_write_b32 a99, v15
	v_fma_f64 v[18:19], s[18:19], v[238:239], v[16:17]
	v_add_f64 v[22:23], v[22:23], v[26:27]
	v_mul_f64 v[26:27], v[200:201], s[42:43]
	v_fma_f64 v[38:39], v[190:191], s[10:11], -v[34:35]
	v_add_f64 v[184:185], v[184:185], v[186:187]
	v_accvgpr_write_b32 a98, v14
	v_accvgpr_write_b32 a97, v13
	v_accvgpr_write_b32 a96, v12
	v_add_f64 v[14:15], v[18:19], v[22:23]
	v_mul_f64 v[18:19], v[198:199], s[28:29]
	v_fma_f64 v[30:31], v[188:189], s[26:27], -v[26:27]
	v_add_f64 v[38:39], v[38:39], v[184:185]
	v_fma_f64 v[22:23], v[234:235], s[18:19], -v[18:19]
	v_add_f64 v[30:31], v[30:31], v[38:39]
	v_add_f64 v[12:13], v[22:23], v[30:31]
	v_fma_f64 v[30:31], v[252:253], s[20:21], -v[36:37]
	v_fma_f64 v[36:37], v[4:5], s[14:15], -v[182:183]
	;; [unrolled: 1-line block ×6, first 2 shown]
	v_add_f64 v[36:37], v[130:131], v[36:37]
	v_add_f64 v[32:33], v[32:33], v[36:37]
	;; [unrolled: 1-line block ×5, first 2 shown]
	v_fma_f64 v[20:21], v[240:241], s[26:27], -v[20:21]
	v_add_f64 v[22:23], v[22:23], v[24:25]
	v_fma_f64 v[16:17], v[238:239], s[18:19], -v[16:17]
	v_add_f64 v[20:21], v[20:21], v[22:23]
	v_fmac_f64_e32 v[226:227], s[14:15], v[10:11]
	v_add_f64 v[186:187], v[16:17], v[20:21]
	v_fmac_f64_e32 v[222:223], s[24:25], v[8:9]
	;; [unrolled: 2-line block ×4, first 2 shown]
	v_add_f64 v[16:17], v[218:219], v[16:17]
	v_add_f64 v[16:17], v[216:217], v[16:17]
	v_mul_f64 v[216:217], v[202:203], s[44:45]
	v_fmac_f64_e32 v[180:181], s[30:31], v[236:237]
	v_mul_f64 v[46:47], v[196:197], s[36:37]
	v_fma_f64 v[182:183], s[10:11], v[4:5], v[216:217]
	v_accvgpr_write_b32 a14, v40
	v_add_f64 v[16:17], v[180:181], v[16:17]
	v_mul_f64 v[36:37], v[194:195], s[54:55]
	v_fma_f64 v[180:181], s[30:31], v[0:1], v[46:47]
	v_add_f64 v[182:183], v[130:131], v[182:183]
	v_accvgpr_write_b32 a15, v41
	v_accvgpr_write_b32 a16, v42
	v_accvgpr_write_b32 a17, v43
	v_mul_f64 v[40:41], v[214:215], s[44:45]
	v_fmac_f64_e32 v[34:35], s[10:11], v[190:191]
	v_mul_f64 v[32:33], v[6:7], s[40:41]
	v_fma_f64 v[38:39], s[14:15], v[252:253], v[36:37]
	v_add_f64 v[180:181], v[180:181], v[182:183]
	v_mul_f64 v[228:229], v[212:213], s[36:37]
	v_fma_f64 v[42:43], v[10:11], s[10:11], -v[40:41]
	v_add_f64 v[16:17], v[34:35], v[16:17]
	v_mul_f64 v[28:29], v[2:3], s[52:53]
	v_fma_f64 v[34:35], s[26:27], v[248:249], v[32:33]
	v_add_f64 v[38:39], v[38:39], v[180:181]
	v_mul_f64 v[224:225], v[208:209], s[54:55]
	v_fma_f64 v[230:231], v[8:9], s[30:31], -v[228:229]
	v_add_f64 v[42:43], v[128:129], v[42:43]
	v_fmac_f64_e32 v[26:27], s[26:27], v[188:189]
	v_mul_f64 v[24:25], v[254:255], s[34:35]
	v_fma_f64 v[30:31], s[16:17], v[244:245], v[28:29]
	v_add_f64 v[34:35], v[34:35], v[38:39]
	v_mul_f64 v[222:223], v[206:207], s[40:41]
	v_fma_f64 v[226:227], v[232:233], s[14:15], -v[224:225]
	v_add_f64 v[42:43], v[230:231], v[42:43]
	v_fmac_f64_e32 v[18:19], s[18:19], v[234:235]
	v_add_f64 v[16:17], v[26:27], v[16:17]
	v_mul_f64 v[20:21], v[250:251], s[56:57]
	v_fma_f64 v[26:27], s[24:25], v[242:243], v[24:25]
	v_add_f64 v[30:31], v[30:31], v[34:35]
	v_mul_f64 v[220:221], v[210:211], s[52:53]
	v_fma_f64 v[218:219], v[192:193], s[26:27], -v[222:223]
	v_add_f64 v[42:43], v[226:227], v[42:43]
	v_add_f64 v[184:185], v[18:19], v[16:17]
	v_mul_f64 v[16:17], v[246:247], s[46:47]
	v_fma_f64 v[22:23], s[18:19], v[240:241], v[20:21]
	v_add_f64 v[26:27], v[26:27], v[30:31]
	v_mul_f64 v[34:35], v[204:205], s[34:35]
	v_fma_f64 v[180:181], v[236:237], s[16:17], -v[220:221]
	v_add_f64 v[42:43], v[218:219], v[42:43]
	v_fma_f64 v[18:19], s[20:21], v[238:239], v[16:17]
	v_add_f64 v[22:23], v[22:23], v[26:27]
	v_mul_f64 v[26:27], v[200:201], s[56:57]
	v_fma_f64 v[38:39], v[190:191], s[24:25], -v[34:35]
	v_add_f64 v[42:43], v[180:181], v[42:43]
	v_add_f64 v[182:183], v[18:19], v[22:23]
	v_mul_f64 v[18:19], v[198:199], s[46:47]
	v_fma_f64 v[30:31], v[188:189], s[18:19], -v[26:27]
	v_add_f64 v[38:39], v[38:39], v[42:43]
	v_fma_f64 v[22:23], v[234:235], s[20:21], -v[18:19]
	v_add_f64 v[30:31], v[30:31], v[38:39]
	v_add_f64 v[180:181], v[22:23], v[30:31]
	v_fma_f64 v[30:31], v[252:253], s[14:15], -v[36:37]
	v_fma_f64 v[36:37], v[4:5], s[10:11], -v[216:217]
	;; [unrolled: 1-line block ×6, first 2 shown]
	v_add_f64 v[36:37], v[130:131], v[36:37]
	v_add_f64 v[32:33], v[32:33], v[36:37]
	;; [unrolled: 1-line block ×5, first 2 shown]
	v_fma_f64 v[20:21], v[240:241], s[18:19], -v[20:21]
	v_add_f64 v[22:23], v[22:23], v[24:25]
	v_fma_f64 v[16:17], v[238:239], s[20:21], -v[16:17]
	v_add_f64 v[20:21], v[20:21], v[22:23]
	v_fmac_f64_e32 v[40:41], s[10:11], v[10:11]
	v_add_f64 v[218:219], v[16:17], v[20:21]
	v_fmac_f64_e32 v[228:229], s[30:31], v[8:9]
	;; [unrolled: 2-line block ×5, first 2 shown]
	v_add_f64 v[16:17], v[222:223], v[16:17]
	v_mul_f64 v[46:47], v[202:203], s[52:53]
	v_add_f64 v[16:17], v[220:221], v[16:17]
	s_mov_b32 s51, 0x3fc7851a
	s_mov_b32 s50, s36
	v_mul_f64 v[40:41], v[196:197], s[28:29]
	v_fma_f64 v[220:221], s[16:17], v[4:5], v[46:47]
	v_accvgpr_write_b32 a103, v15
	v_mul_f64 v[36:37], v[194:195], s[50:51]
	v_fma_f64 v[42:43], s[18:19], v[0:1], v[40:41]
	v_add_f64 v[220:221], v[130:131], v[220:221]
	v_mul_f64 v[64:65], v[214:215], s[52:53]
	v_accvgpr_write_b32 a102, v14
	v_accvgpr_write_b32 a101, v13
	;; [unrolled: 1-line block ×3, first 2 shown]
	v_fmac_f64_e32 v[34:35], s[24:25], v[190:191]
	v_mul_f64 v[32:33], v[6:7], s[54:55]
	v_fma_f64 v[38:39], s[30:31], v[252:253], v[36:37]
	v_add_f64 v[42:43], v[42:43], v[220:221]
	v_mul_f64 v[12:13], v[212:213], s[28:29]
	v_fma_f64 v[66:67], v[10:11], s[16:17], -v[64:65]
	v_add_f64 v[16:17], v[34:35], v[16:17]
	v_mul_f64 v[28:29], v[2:3], s[46:47]
	v_fma_f64 v[34:35], s[14:15], v[248:249], v[32:33]
	v_add_f64 v[38:39], v[38:39], v[42:43]
	v_mul_f64 v[228:229], v[208:209], s[50:51]
	v_fma_f64 v[14:15], v[8:9], s[18:19], -v[12:13]
	v_add_f64 v[66:67], v[128:129], v[66:67]
	v_fmac_f64_e32 v[26:27], s[18:19], v[188:189]
	v_mul_f64 v[24:25], v[254:255], s[42:43]
	v_fma_f64 v[30:31], s[20:21], v[244:245], v[28:29]
	v_add_f64 v[34:35], v[34:35], v[38:39]
	v_mul_f64 v[224:225], v[206:207], s[54:55]
	v_fma_f64 v[230:231], v[232:233], s[30:31], -v[228:229]
	v_add_f64 v[14:15], v[14:15], v[66:67]
	v_fmac_f64_e32 v[18:19], s[20:21], v[234:235]
	v_add_f64 v[16:17], v[26:27], v[16:17]
	v_mul_f64 v[20:21], v[250:251], s[44:45]
	v_fma_f64 v[26:27], s[26:27], v[242:243], v[24:25]
	v_add_f64 v[30:31], v[30:31], v[34:35]
	v_mul_f64 v[42:43], v[210:211], s[46:47]
	v_fma_f64 v[226:227], v[192:193], s[14:15], -v[224:225]
	v_add_f64 v[14:15], v[230:231], v[14:15]
	v_add_f64 v[216:217], v[18:19], v[16:17]
	v_mul_f64 v[16:17], v[246:247], s[34:35]
	v_fma_f64 v[22:23], s[10:11], v[240:241], v[20:21]
	v_add_f64 v[26:27], v[26:27], v[30:31]
	v_mul_f64 v[34:35], v[204:205], s[42:43]
	v_fma_f64 v[220:221], v[236:237], s[20:21], -v[42:43]
	v_add_f64 v[14:15], v[226:227], v[14:15]
	v_fma_f64 v[18:19], s[24:25], v[238:239], v[16:17]
	v_add_f64 v[22:23], v[22:23], v[26:27]
	v_mul_f64 v[26:27], v[200:201], s[44:45]
	v_fma_f64 v[38:39], v[190:191], s[26:27], -v[34:35]
	v_add_f64 v[14:15], v[220:221], v[14:15]
	v_add_f64 v[222:223], v[18:19], v[22:23]
	v_mul_f64 v[18:19], v[198:199], s[34:35]
	v_fma_f64 v[30:31], v[188:189], s[10:11], -v[26:27]
	v_add_f64 v[14:15], v[38:39], v[14:15]
	v_fma_f64 v[22:23], v[234:235], s[24:25], -v[18:19]
	v_add_f64 v[14:15], v[30:31], v[14:15]
	v_add_f64 v[220:221], v[22:23], v[14:15]
	v_fma_f64 v[14:15], v[238:239], s[24:25], -v[16:17]
	v_fma_f64 v[16:17], v[240:241], s[10:11], -v[20:21]
	;; [unrolled: 1-line block ×6, first 2 shown]
	v_add_f64 v[32:33], v[130:131], v[32:33]
	v_fma_f64 v[22:23], v[244:245], s[20:21], -v[28:29]
	v_fma_f64 v[28:29], v[252:253], s[30:31], -v[36:37]
	v_add_f64 v[30:31], v[30:31], v[32:33]
	v_add_f64 v[28:29], v[28:29], v[30:31]
	;; [unrolled: 1-line block ×6, first 2 shown]
	v_fmac_f64_e32 v[64:65], s[16:17], v[10:11]
	v_add_f64 v[230:231], v[14:15], v[16:17]
	v_fmac_f64_e32 v[12:13], s[18:19], v[8:9]
	v_add_f64 v[14:15], v[128:129], v[64:65]
	;; [unrolled: 2-line block ×5, first 2 shown]
	v_mul_f64 v[40:41], v[202:203], s[48:49]
	v_add_f64 v[12:13], v[42:43], v[12:13]
	v_mul_f64 v[36:37], v[196:197], s[44:45]
	v_fma_f64 v[42:43], s[20:21], v[4:5], v[40:41]
	v_fmac_f64_e32 v[34:35], s[26:27], v[190:191]
	v_mul_f64 v[32:33], v[194:195], s[28:29]
	v_fma_f64 v[38:39], s[10:11], v[0:1], v[36:37]
	v_add_f64 v[42:43], v[130:131], v[42:43]
	v_mul_f64 v[72:73], v[214:215], s[48:49]
	v_add_f64 v[12:13], v[34:35], v[12:13]
	v_mul_f64 v[28:29], v[6:7], s[36:37]
	v_fma_f64 v[34:35], s[18:19], v[252:253], v[32:33]
	v_add_f64 v[38:39], v[38:39], v[42:43]
	v_mul_f64 v[68:69], v[212:213], s[44:45]
	v_fma_f64 v[74:75], v[10:11], s[20:21], -v[72:73]
	v_fmac_f64_e32 v[26:27], s[10:11], v[188:189]
	v_mul_f64 v[24:25], v[2:3], s[58:59]
	v_fma_f64 v[30:31], s[30:31], v[248:249], v[28:29]
	v_add_f64 v[34:35], v[34:35], v[38:39]
	v_mul_f64 v[66:67], v[208:209], s[28:29]
	v_fma_f64 v[70:71], v[8:9], s[10:11], -v[68:69]
	v_add_f64 v[74:75], v[128:129], v[74:75]
	v_add_f64 v[12:13], v[26:27], v[12:13]
	v_mul_f64 v[20:21], v[254:255], s[54:55]
	v_fma_f64 v[26:27], s[24:25], v[244:245], v[24:25]
	v_add_f64 v[30:31], v[30:31], v[34:35]
	v_mul_f64 v[46:47], v[206:207], s[36:37]
	v_fma_f64 v[224:225], v[232:233], s[18:19], -v[66:67]
	v_add_f64 v[70:71], v[70:71], v[74:75]
	v_fmac_f64_e32 v[18:19], s[24:25], v[234:235]
	v_mul_f64 v[16:17], v[250:251], s[38:39]
	v_fma_f64 v[22:23], s[14:15], v[242:243], v[20:21]
	v_add_f64 v[26:27], v[26:27], v[30:31]
	v_mul_f64 v[38:39], v[210:211], s[58:59]
	v_fma_f64 v[64:65], v[192:193], s[30:31], -v[46:47]
	v_add_f64 v[70:71], v[224:225], v[70:71]
	v_add_f64 v[228:229], v[18:19], v[12:13]
	v_mul_f64 v[12:13], v[246:247], s[40:41]
	v_fma_f64 v[18:19], s[16:17], v[240:241], v[16:17]
	v_add_f64 v[22:23], v[22:23], v[26:27]
	v_mul_f64 v[30:31], v[204:205], s[54:55]
	v_fma_f64 v[42:43], v[236:237], s[24:25], -v[38:39]
	v_add_f64 v[64:65], v[64:65], v[70:71]
	v_fma_f64 v[14:15], s[26:27], v[238:239], v[12:13]
	v_add_f64 v[18:19], v[18:19], v[22:23]
	v_mul_f64 v[22:23], v[200:201], s[38:39]
	v_fma_f64 v[34:35], v[190:191], s[14:15], -v[30:31]
	v_add_f64 v[42:43], v[42:43], v[64:65]
	v_add_f64 v[226:227], v[14:15], v[18:19]
	v_mul_f64 v[14:15], v[198:199], s[40:41]
	v_fma_f64 v[26:27], v[188:189], s[16:17], -v[22:23]
	v_add_f64 v[34:35], v[34:35], v[42:43]
	v_fma_f64 v[18:19], v[234:235], s[26:27], -v[14:15]
	v_add_f64 v[26:27], v[26:27], v[34:35]
	v_add_f64 v[224:225], v[18:19], v[26:27]
	v_fma_f64 v[26:27], v[252:253], s[18:19], -v[32:33]
	v_fma_f64 v[32:33], v[4:5], s[20:21], -v[40:41]
	;; [unrolled: 1-line block ×6, first 2 shown]
	v_add_f64 v[32:33], v[130:131], v[32:33]
	v_add_f64 v[28:29], v[28:29], v[32:33]
	;; [unrolled: 1-line block ×5, first 2 shown]
	v_fma_f64 v[16:17], v[240:241], s[16:17], -v[16:17]
	v_add_f64 v[18:19], v[18:19], v[20:21]
	v_fma_f64 v[12:13], v[238:239], s[26:27], -v[12:13]
	v_add_f64 v[16:17], v[16:17], v[18:19]
	v_fmac_f64_e32 v[72:73], s[20:21], v[10:11]
	v_add_f64 v[18:19], v[12:13], v[16:17]
	v_fmac_f64_e32 v[68:69], s[10:11], v[8:9]
	;; [unrolled: 2-line block ×4, first 2 shown]
	v_add_f64 v[12:13], v[66:67], v[12:13]
	v_mul_f64 v[40:41], v[202:203], s[42:43]
	v_fmac_f64_e32 v[38:39], s[24:25], v[236:237]
	v_add_f64 v[12:13], v[46:47], v[12:13]
	v_mul_f64 v[36:37], v[196:197], s[48:49]
	v_fma_f64 v[42:43], s[26:27], v[4:5], v[40:41]
	v_fma_f64 v[4:5], v[4:5], s[26:27], -v[40:41]
	v_add_f64 v[12:13], v[38:39], v[12:13]
	v_fma_f64 v[38:39], s[20:21], v[0:1], v[36:37]
	v_fma_f64 v[0:1], v[0:1], s[20:21], -v[36:37]
	v_add_f64 v[4:5], v[130:131], v[4:5]
	v_add_f64 v[0:1], v[0:1], v[4:5]
	;; [unrolled: 1-line block ×6, first 2 shown]
	v_mul_f64 v[32:33], v[194:195], s[52:53]
	v_add_f64 v[42:43], v[130:131], v[42:43]
	v_mul_f64 v[74:75], v[214:215], s[42:43]
	v_add_f64 v[4:5], v[4:5], v[126:127]
	v_fmac_f64_e32 v[30:31], s[14:15], v[190:191]
	v_mul_f64 v[6:7], v[6:7], s[44:45]
	v_fma_f64 v[34:35], s[16:17], v[252:253], v[32:33]
	v_add_f64 v[38:39], v[38:39], v[42:43]
	v_mul_f64 v[70:71], v[212:213], s[48:49]
	v_fma_f64 v[194:195], v[10:11], s[26:27], -v[74:75]
	v_add_f64 v[4:5], v[4:5], v[158:159]
	v_add_f64 v[12:13], v[30:31], v[12:13]
	v_mul_f64 v[2:3], v[2:3], s[22:23]
	v_fma_f64 v[30:31], s[10:11], v[248:249], v[6:7]
	v_add_f64 v[34:35], v[34:35], v[38:39]
	v_mul_f64 v[66:67], v[208:209], s[52:53]
	v_fma_f64 v[72:73], v[8:9], s[20:21], -v[70:71]
	v_add_f64 v[194:195], v[128:129], v[194:195]
	v_add_f64 v[4:5], v[4:5], v[162:163]
	v_fmac_f64_e32 v[22:23], s[16:17], v[188:189]
	v_mul_f64 v[24:25], v[254:255], s[28:29]
	v_fma_f64 v[28:29], s[14:15], v[244:245], v[2:3]
	v_add_f64 v[30:31], v[30:31], v[34:35]
	v_mul_f64 v[46:47], v[206:207], s[44:45]
	v_fma_f64 v[68:69], v[232:233], s[16:17], -v[66:67]
	v_add_f64 v[72:73], v[72:73], v[194:195]
	v_add_f64 v[4:5], v[4:5], v[134:135]
	v_fmac_f64_e32 v[14:15], s[26:27], v[234:235]
	v_add_f64 v[12:13], v[22:23], v[12:13]
	v_mul_f64 v[20:21], v[250:251], s[34:35]
	v_fma_f64 v[26:27], s[18:19], v[242:243], v[24:25]
	v_add_f64 v[28:29], v[28:29], v[30:31]
	v_mul_f64 v[38:39], v[210:211], s[22:23]
	v_fma_f64 v[64:65], v[192:193], s[10:11], -v[46:47]
	v_add_f64 v[68:69], v[68:69], v[72:73]
	v_add_f64 v[4:5], v[4:5], v[166:167]
	;; [unrolled: 1-line block ×3, first 2 shown]
	v_mul_f64 v[12:13], v[246:247], s[36:37]
	v_fma_f64 v[22:23], s[24:25], v[240:241], v[20:21]
	v_add_f64 v[26:27], v[26:27], v[28:29]
	v_mul_f64 v[30:31], v[204:205], s[28:29]
	v_fma_f64 v[42:43], v[236:237], s[14:15], -v[38:39]
	v_add_f64 v[64:65], v[64:65], v[68:69]
	v_add_f64 v[4:5], v[4:5], v[170:171]
	v_fma_f64 v[14:15], s[30:31], v[238:239], v[12:13]
	v_add_f64 v[22:23], v[22:23], v[26:27]
	v_mul_f64 v[26:27], v[200:201], s[34:35]
	v_fma_f64 v[34:35], v[190:191], s[18:19], -v[30:31]
	v_add_f64 v[42:43], v[42:43], v[64:65]
	v_add_f64 v[4:5], v[4:5], v[142:143]
	;; [unrolled: 1-line block ×3, first 2 shown]
	v_mul_f64 v[14:15], v[198:199], s[36:37]
	v_fma_f64 v[28:29], v[188:189], s[24:25], -v[26:27]
	v_add_f64 v[34:35], v[34:35], v[42:43]
	v_add_f64 v[4:5], v[4:5], v[174:175]
	v_fma_f64 v[22:23], v[234:235], s[30:31], -v[14:15]
	v_add_f64 v[28:29], v[28:29], v[34:35]
	v_add_f64 v[4:5], v[4:5], v[178:179]
	;; [unrolled: 1-line block ×3, first 2 shown]
	v_fma_f64 v[22:23], v[242:243], s[18:19], -v[24:25]
	v_fma_f64 v[24:25], v[252:253], s[16:17], -v[32:33]
	v_add_f64 v[4:5], v[4:5], v[154:155]
	v_fma_f64 v[6:7], v[248:249], s[10:11], -v[6:7]
	v_add_f64 v[0:1], v[24:25], v[0:1]
	v_add_f64 v[4:5], v[4:5], v[78:79]
	;; [unrolled: 1-line block ×9, first 2 shown]
	v_fma_f64 v[2:3], v[244:245], s[14:15], -v[2:3]
	v_add_f64 v[4:5], v[4:5], v[156:157]
	v_add_f64 v[0:1], v[2:3], v[0:1]
	;; [unrolled: 1-line block ×3, first 2 shown]
	v_fma_f64 v[20:21], v[240:241], s[24:25], -v[20:21]
	v_add_f64 v[0:1], v[22:23], v[0:1]
	v_add_f64 v[4:5], v[4:5], v[132:133]
	v_fma_f64 v[12:13], v[238:239], s[30:31], -v[12:13]
	v_add_f64 v[0:1], v[20:21], v[0:1]
	v_fmac_f64_e32 v[74:75], s[26:27], v[10:11]
	v_add_f64 v[4:5], v[4:5], v[164:165]
	v_add_f64 v[2:3], v[12:13], v[0:1]
	v_fmac_f64_e32 v[70:71], s[20:21], v[8:9]
	v_add_f64 v[0:1], v[128:129], v[74:75]
	v_add_f64 v[4:5], v[4:5], v[168:169]
	v_fmac_f64_e32 v[66:67], s[16:17], v[232:233]
	v_add_f64 v[0:1], v[70:71], v[0:1]
	v_add_f64 v[4:5], v[4:5], v[140:141]
	v_fmac_f64_e32 v[46:47], s[10:11], v[192:193]
	v_add_f64 v[0:1], v[66:67], v[0:1]
	v_add_f64 v[4:5], v[4:5], v[172:173]
	v_fmac_f64_e32 v[38:39], s[14:15], v[236:237]
	v_add_f64 v[0:1], v[46:47], v[0:1]
	v_add_f64 v[4:5], v[4:5], v[176:177]
	v_fmac_f64_e32 v[30:31], s[18:19], v[190:191]
	v_accvgpr_read_b32 v232, a2
	v_add_f64 v[0:1], v[38:39], v[0:1]
	v_add_f64 v[4:5], v[4:5], v[152:153]
	v_fmac_f64_e32 v[26:27], s[24:25], v[188:189]
	v_add_f64 v[0:1], v[30:31], v[0:1]
	v_add_f64 v[4:5], v[4:5], v[76:77]
	v_mul_lo_u16_e32 v8, 17, v232
	v_accvgpr_read_b32 v9, a78
	v_fmac_f64_e32 v[14:15], s[30:31], v[234:235]
	v_add_f64 v[0:1], v[26:27], v[0:1]
	v_add_f64 v[4:5], v[4:5], v[80:81]
	v_lshl_add_u32 v8, v8, 4, v9
	v_accvgpr_read_b32 v203, a29
	v_accvgpr_read_b32 v207, a33
	;; [unrolled: 1-line block ×10, first 2 shown]
	v_add_f64 v[0:1], v[14:15], v[0:1]
	v_accvgpr_read_b32 v83, a69
	ds_write_b128 v8, v[4:7]
	ds_write_b128 v8, v[0:3] offset:16
	ds_write_b128 v8, v[16:19] offset:32
	;; [unrolled: 1-line block ×4, first 2 shown]
	v_accvgpr_read_b32 v219, a45
	ds_write_b128 v8, v[184:187] offset:80
	ds_write_b128 v8, a[96:99] offset:96
	ds_write_b128 v8, a[88:91] offset:112
	ds_write_b128 v8, a[80:83] offset:128
	ds_write_b128 v8, a[74:77] offset:144
	ds_write_b128 v8, a[84:87] offset:160
	ds_write_b128 v8, a[92:95] offset:176
	ds_write_b128 v8, a[100:103] offset:192
	ds_write_b128 v8, v[180:183] offset:208
	ds_write_b128 v8, v[220:223] offset:224
	ds_write_b128 v8, v[224:227] offset:240
	v_accvgpr_read_b32 v229, a57
	v_accvgpr_read_b32 v225, a53
	ds_write_b128 v8, v[194:197] offset:256
	v_accvgpr_read_b32 v199, a25
	v_accvgpr_read_b32 v202, a28
	;; [unrolled: 1-line block ×59, first 2 shown]
.LBB0_13:
	s_or_b64 exec, exec, s[0:1]
	s_waitcnt lgkmcnt(0)
	s_barrier
	ds_read_b128 v[0:3], v44
	ds_read_b128 v[4:7], v44 offset:816
	ds_read_b128 v[8:11], v44 offset:8160
	ds_read_b128 v[16:19], v44 offset:8976
	ds_read_b128 v[132:135], v44 offset:4896
	ds_read_b128 v[136:139], v44 offset:5712
	ds_read_b128 v[120:123], v44 offset:1632
	ds_read_b128 v[124:127], v44 offset:2448
	ds_read_b128 v[140:143], v44 offset:9792
	ds_read_b128 v[144:147], v44 offset:10608
	ds_read_b128 v[148:151], v44 offset:4080
	ds_read_b128 v[128:131], v44 offset:3264
	ds_read_b128 v[152:155], v44 offset:6528
	ds_read_b128 v[156:159], v44 offset:7344
	ds_read_b128 v[160:163], v44 offset:11424
	s_waitcnt lgkmcnt(12)
	v_mul_f64 v[22:23], v[198:199], v[10:11]
	v_fmac_f64_e32 v[22:23], v[196:197], v[8:9]
	v_mul_f64 v[8:9], v[198:199], v[8:9]
	v_fma_f64 v[24:25], v[196:197], v[10:11], -v[8:9]
	s_waitcnt lgkmcnt(10)
	v_mul_f64 v[26:27], v[30:31], v[134:135]
	v_mul_f64 v[8:9], v[30:31], v[132:133]
	v_fmac_f64_e32 v[26:27], v[28:29], v[132:133]
	v_fma_f64 v[28:29], v[28:29], v[134:135], -v[8:9]
	v_mul_f64 v[30:31], v[34:35], v[18:19]
	v_mul_f64 v[8:9], v[34:35], v[16:17]
	v_fmac_f64_e32 v[30:31], v[32:33], v[16:17]
	v_fma_f64 v[32:33], v[32:33], v[18:19], -v[8:9]
	s_waitcnt lgkmcnt(9)
	v_mul_f64 v[34:35], v[38:39], v[138:139]
	v_mul_f64 v[8:9], v[38:39], v[136:137]
	v_fmac_f64_e32 v[34:35], v[36:37], v[136:137]
	v_fma_f64 v[36:37], v[36:37], v[138:139], -v[8:9]
	s_waitcnt lgkmcnt(6)
	;; [unrolled: 5-line block ×3, first 2 shown]
	v_mul_f64 v[8:9], v[210:211], v[152:153]
	v_mul_f64 v[14:15], v[206:207], v[150:151]
	v_fma_f64 v[46:47], v[208:209], v[154:155], -v[8:9]
	v_mul_f64 v[8:9], v[202:203], v[144:145]
	v_fmac_f64_e32 v[14:15], v[204:205], v[148:149]
	v_mul_f64 v[12:13], v[206:207], v[148:149]
	v_fma_f64 v[66:67], v[200:201], v[146:147], -v[8:9]
	s_waitcnt lgkmcnt(1)
	v_mul_f64 v[8:9], v[218:219], v[156:157]
	v_fma_f64 v[20:21], v[204:205], v[150:151], -v[12:13]
	v_fma_f64 v[70:71], v[216:217], v[158:159], -v[8:9]
	s_waitcnt lgkmcnt(0)
	v_mul_f64 v[8:9], v[214:215], v[160:161]
	v_add_f64 v[10:11], v[14:15], v[22:23]
	s_mov_b32 s0, 0xe8584caa
	v_fma_f64 v[74:75], v[212:213], v[162:163], -v[8:9]
	v_add_f64 v[8:9], v[0:1], v[14:15]
	v_fmac_f64_e32 v[0:1], -0.5, v[10:11]
	v_add_f64 v[10:11], v[20:21], -v[24:25]
	s_mov_b32 s1, 0xbfebb67a
	s_mov_b32 s11, 0x3febb67a
	;; [unrolled: 1-line block ×3, first 2 shown]
	v_add_f64 v[16:17], v[20:21], v[24:25]
	v_fma_f64 v[12:13], s[0:1], v[10:11], v[0:1]
	v_fmac_f64_e32 v[0:1], s[10:11], v[10:11]
	v_add_f64 v[10:11], v[2:3], v[20:21]
	v_fmac_f64_e32 v[2:3], -0.5, v[16:17]
	v_add_f64 v[16:17], v[14:15], -v[22:23]
	v_add_f64 v[18:19], v[26:27], v[30:31]
	v_add_f64 v[8:9], v[8:9], v[22:23]
	v_fma_f64 v[14:15], s[10:11], v[16:17], v[2:3]
	v_fmac_f64_e32 v[2:3], s[0:1], v[16:17]
	v_add_f64 v[16:17], v[4:5], v[26:27]
	v_fmac_f64_e32 v[4:5], -0.5, v[18:19]
	v_add_f64 v[18:19], v[28:29], -v[32:33]
	v_add_f64 v[22:23], v[28:29], v[32:33]
	v_mul_f64 v[42:43], v[210:211], v[154:155]
	v_mul_f64 v[64:65], v[202:203], v[146:147]
	v_add_f64 v[10:11], v[10:11], v[24:25]
	v_fma_f64 v[20:21], s[0:1], v[18:19], v[4:5]
	v_fmac_f64_e32 v[4:5], s[10:11], v[18:19]
	v_add_f64 v[18:19], v[6:7], v[28:29]
	v_fmac_f64_e32 v[6:7], -0.5, v[22:23]
	v_add_f64 v[24:25], v[26:27], -v[30:31]
	v_add_f64 v[26:27], v[34:35], v[38:39]
	v_fmac_f64_e32 v[42:43], v[208:209], v[152:153]
	v_fmac_f64_e32 v[64:65], v[200:201], v[144:145]
	v_add_f64 v[16:17], v[16:17], v[30:31]
	v_fma_f64 v[22:23], s[10:11], v[24:25], v[6:7]
	v_fmac_f64_e32 v[6:7], s[0:1], v[24:25]
	v_add_f64 v[24:25], v[120:121], v[34:35]
	v_fmac_f64_e32 v[120:121], -0.5, v[26:27]
	v_add_f64 v[26:27], v[36:37], -v[40:41]
	v_add_f64 v[30:31], v[36:37], v[40:41]
	v_mul_f64 v[68:69], v[218:219], v[158:159]
	v_mul_f64 v[72:73], v[214:215], v[162:163]
	v_add_f64 v[18:19], v[18:19], v[32:33]
	v_fma_f64 v[28:29], s[0:1], v[26:27], v[120:121]
	v_fmac_f64_e32 v[120:121], s[10:11], v[26:27]
	v_add_f64 v[26:27], v[122:123], v[36:37]
	v_fmac_f64_e32 v[122:123], -0.5, v[30:31]
	v_add_f64 v[32:33], v[34:35], -v[38:39]
	v_add_f64 v[34:35], v[42:43], v[64:65]
	v_fmac_f64_e32 v[68:69], v[216:217], v[156:157]
	v_fmac_f64_e32 v[72:73], v[212:213], v[160:161]
	v_add_f64 v[24:25], v[24:25], v[38:39]
	v_fma_f64 v[30:31], s[10:11], v[32:33], v[122:123]
	v_fmac_f64_e32 v[122:123], s[0:1], v[32:33]
	v_add_f64 v[32:33], v[124:125], v[42:43]
	v_fmac_f64_e32 v[124:125], -0.5, v[34:35]
	v_add_f64 v[34:35], v[46:47], -v[66:67]
	v_add_f64 v[38:39], v[46:47], v[66:67]
	v_add_f64 v[26:27], v[26:27], v[40:41]
	v_fma_f64 v[36:37], s[0:1], v[34:35], v[124:125]
	v_fmac_f64_e32 v[124:125], s[10:11], v[34:35]
	v_add_f64 v[34:35], v[126:127], v[46:47]
	v_fmac_f64_e32 v[126:127], -0.5, v[38:39]
	v_add_f64 v[40:41], v[42:43], -v[64:65]
	v_add_f64 v[42:43], v[68:69], v[72:73]
	v_fma_f64 v[38:39], s[10:11], v[40:41], v[126:127]
	v_fmac_f64_e32 v[126:127], s[0:1], v[40:41]
	v_add_f64 v[40:41], v[128:129], v[68:69]
	v_fmac_f64_e32 v[128:129], -0.5, v[42:43]
	v_add_f64 v[42:43], v[70:71], -v[74:75]
	;; [unrolled: 6-line block ×3, first 2 shown]
	v_add_f64 v[32:33], v[32:33], v[64:65]
	v_add_f64 v[34:35], v[34:35], v[66:67]
	;; [unrolled: 1-line block ×3, first 2 shown]
	v_fma_f64 v[134:135], s[10:11], v[46:47], v[130:131]
	v_fmac_f64_e32 v[130:131], s[0:1], v[46:47]
	v_add_f64 v[42:43], v[42:43], v[74:75]
	s_barrier
	ds_write_b128 v192, v[8:11]
	ds_write_b128 v192, v[12:15] offset:272
	ds_write_b128 v192, v[0:3] offset:544
	ds_write_b128 v193, v[16:19]
	ds_write_b128 v193, v[20:23] offset:272
	ds_write_b128 v193, v[4:7] offset:544
	;; [unrolled: 3-line block ×5, first 2 shown]
	s_waitcnt lgkmcnt(0)
	s_barrier
	ds_read_b128 v[0:3], v44
	ds_read_b128 v[4:7], v44 offset:816
	ds_read_b128 v[12:15], v44 offset:4896
	;; [unrolled: 1-line block ×14, first 2 shown]
	s_waitcnt lgkmcnt(12)
	v_mul_f64 v[66:67], v[58:59], v[14:15]
	v_fmac_f64_e32 v[66:67], v[56:57], v[12:13]
	v_mul_f64 v[12:13], v[58:59], v[12:13]
	v_fma_f64 v[68:69], v[56:57], v[14:15], -v[12:13]
	s_waitcnt lgkmcnt(4)
	v_mul_f64 v[12:13], v[54:55], v[120:121]
	v_mul_f64 v[70:71], v[54:55], v[122:123]
	v_fma_f64 v[72:73], v[52:53], v[122:123], -v[12:13]
	v_mul_f64 v[12:13], v[50:51], v[20:21]
	v_fmac_f64_e32 v[70:71], v[52:53], v[120:121]
	v_fma_f64 v[120:121], v[48:49], v[22:23], -v[12:13]
	v_mul_f64 v[12:13], v[62:63], v[32:33]
	v_fma_f64 v[140:141], v[60:61], v[34:35], -v[12:13]
	v_mul_f64 v[12:13], v[58:59], v[16:17]
	v_fma_f64 v[142:143], v[56:57], v[18:19], -v[12:13]
	s_waitcnt lgkmcnt(2)
	v_mul_f64 v[144:145], v[54:55], v[130:131]
	v_mul_f64 v[12:13], v[54:55], v[128:129]
	;; [unrolled: 1-line block ×3, first 2 shown]
	v_fmac_f64_e32 v[144:145], v[52:53], v[128:129]
	v_fma_f64 v[128:129], v[52:53], v[130:131], -v[12:13]
	v_mul_f64 v[12:13], v[50:51], v[24:25]
	v_fmac_f64_e32 v[46:47], v[60:61], v[28:29]
	v_mul_f64 v[28:29], v[62:63], v[28:29]
	v_fma_f64 v[130:131], v[48:49], v[26:27], -v[12:13]
	v_mul_f64 v[12:13], v[244:245], v[38:39]
	v_fma_f64 v[64:65], v[60:61], v[30:31], -v[28:29]
	v_fma_f64 v[28:29], v[242:243], v[40:41], -v[12:13]
	v_mul_f64 v[12:13], v[240:241], v[124:125]
	v_mul_f64 v[122:123], v[62:63], v[34:35]
	v_fma_f64 v[30:31], v[238:239], v[126:127], -v[12:13]
	s_waitcnt lgkmcnt(1)
	v_mul_f64 v[12:13], v[228:229], v[132:133]
	v_fmac_f64_e32 v[122:123], v[60:61], v[32:33]
	v_fma_f64 v[32:33], v[226:227], v[134:135], -v[12:13]
	s_waitcnt lgkmcnt(0)
	v_mul_f64 v[12:13], v[224:225], v[136:137]
	v_fma_f64 v[34:35], v[222:223], v[138:139], -v[12:13]
	v_add_f64 v[12:13], v[0:1], v[46:47]
	v_mul_f64 v[74:75], v[50:51], v[22:23]
	v_add_f64 v[12:13], v[12:13], v[66:67]
	v_fmac_f64_e32 v[74:75], v[48:49], v[20:21]
	v_mul_f64 v[62:63], v[58:59], v[18:19]
	v_add_f64 v[12:13], v[12:13], v[70:71]
	v_fmac_f64_e32 v[62:63], v[56:57], v[16:17]
	v_add_f64 v[16:17], v[12:13], v[74:75]
	v_add_f64 v[12:13], v[66:67], v[70:71]
	s_mov_b32 s16, 0x134454ff
	v_mul_f64 v[58:59], v[50:51], v[26:27]
	v_fma_f64 v[12:13], -0.5, v[12:13], v[0:1]
	v_add_f64 v[14:15], v[64:65], -v[120:121]
	s_mov_b32 s17, 0xbfee6f0e
	s_mov_b32 s14, 0x4755a5e
	;; [unrolled: 1-line block ×4, first 2 shown]
	v_fmac_f64_e32 v[58:59], v[48:49], v[24:25]
	v_fma_f64 v[20:21], s[16:17], v[14:15], v[12:13]
	v_add_f64 v[18:19], v[68:69], -v[72:73]
	s_mov_b32 s15, 0xbfe2cf23
	v_add_f64 v[22:23], v[46:47], -v[66:67]
	v_add_f64 v[24:25], v[74:75], -v[70:71]
	s_mov_b32 s18, 0x372fe950
	v_fmac_f64_e32 v[12:13], s[20:21], v[14:15]
	s_mov_b32 s23, 0x3fe2cf23
	s_mov_b32 s22, s14
	v_fmac_f64_e32 v[20:21], s[14:15], v[18:19]
	v_add_f64 v[22:23], v[22:23], v[24:25]
	s_mov_b32 s19, 0x3fd3c6ef
	v_fmac_f64_e32 v[12:13], s[22:23], v[18:19]
	v_fmac_f64_e32 v[20:21], s[18:19], v[22:23]
	;; [unrolled: 1-line block ×3, first 2 shown]
	v_add_f64 v[22:23], v[46:47], v[74:75]
	v_fmac_f64_e32 v[0:1], -0.5, v[22:23]
	v_fma_f64 v[24:25], s[20:21], v[18:19], v[0:1]
	v_fmac_f64_e32 v[0:1], s[16:17], v[18:19]
	v_fmac_f64_e32 v[24:25], s[14:15], v[14:15]
	;; [unrolled: 1-line block ×3, first 2 shown]
	v_add_f64 v[14:15], v[2:3], v[64:65]
	v_add_f64 v[14:15], v[14:15], v[68:69]
	;; [unrolled: 1-line block ×3, first 2 shown]
	v_add_f64 v[22:23], v[66:67], -v[46:47]
	v_add_f64 v[26:27], v[70:71], -v[74:75]
	v_add_f64 v[18:19], v[14:15], v[120:121]
	v_add_f64 v[14:15], v[68:69], v[72:73]
	;; [unrolled: 1-line block ×3, first 2 shown]
	v_fma_f64 v[14:15], -0.5, v[14:15], v[2:3]
	v_add_f64 v[46:47], v[46:47], -v[74:75]
	v_fmac_f64_e32 v[24:25], s[18:19], v[22:23]
	v_fmac_f64_e32 v[0:1], s[18:19], v[22:23]
	v_fma_f64 v[22:23], s[20:21], v[46:47], v[14:15]
	v_add_f64 v[48:49], v[66:67], -v[70:71]
	v_add_f64 v[26:27], v[64:65], -v[68:69]
	;; [unrolled: 1-line block ×3, first 2 shown]
	v_fmac_f64_e32 v[14:15], s[16:17], v[46:47]
	v_fmac_f64_e32 v[22:23], s[22:23], v[48:49]
	v_add_f64 v[26:27], v[26:27], v[50:51]
	v_fmac_f64_e32 v[14:15], s[14:15], v[48:49]
	v_fmac_f64_e32 v[22:23], s[18:19], v[26:27]
	;; [unrolled: 1-line block ×3, first 2 shown]
	v_add_f64 v[26:27], v[64:65], v[120:121]
	v_fmac_f64_e32 v[2:3], -0.5, v[26:27]
	v_fma_f64 v[26:27], s[16:17], v[48:49], v[2:3]
	v_fmac_f64_e32 v[2:3], s[20:21], v[48:49]
	v_fmac_f64_e32 v[26:27], s[22:23], v[46:47]
	;; [unrolled: 1-line block ×3, first 2 shown]
	v_add_f64 v[46:47], v[4:5], v[122:123]
	v_add_f64 v[46:47], v[46:47], v[62:63]
	;; [unrolled: 1-line block ×3, first 2 shown]
	v_add_f64 v[50:51], v[68:69], -v[64:65]
	v_add_f64 v[52:53], v[72:73], -v[120:121]
	v_add_f64 v[48:49], v[46:47], v[58:59]
	v_add_f64 v[46:47], v[62:63], v[144:145]
	;; [unrolled: 1-line block ×3, first 2 shown]
	v_fma_f64 v[52:53], -0.5, v[46:47], v[4:5]
	v_add_f64 v[46:47], v[140:141], -v[130:131]
	v_fmac_f64_e32 v[26:27], s[18:19], v[50:51]
	v_fmac_f64_e32 v[2:3], s[18:19], v[50:51]
	v_fma_f64 v[56:57], s[16:17], v[46:47], v[52:53]
	v_add_f64 v[50:51], v[142:143], -v[128:129]
	v_add_f64 v[54:55], v[122:123], -v[62:63]
	;; [unrolled: 1-line block ×3, first 2 shown]
	v_fmac_f64_e32 v[52:53], s[20:21], v[46:47]
	v_fmac_f64_e32 v[56:57], s[14:15], v[50:51]
	v_add_f64 v[54:55], v[54:55], v[60:61]
	v_fmac_f64_e32 v[52:53], s[22:23], v[50:51]
	v_fmac_f64_e32 v[56:57], s[18:19], v[54:55]
	;; [unrolled: 1-line block ×3, first 2 shown]
	v_add_f64 v[54:55], v[122:123], v[58:59]
	v_fmac_f64_e32 v[4:5], -0.5, v[54:55]
	v_fma_f64 v[60:61], s[20:21], v[50:51], v[4:5]
	v_fmac_f64_e32 v[4:5], s[16:17], v[50:51]
	v_fmac_f64_e32 v[60:61], s[14:15], v[46:47]
	;; [unrolled: 1-line block ×3, first 2 shown]
	v_add_f64 v[46:47], v[6:7], v[140:141]
	v_add_f64 v[46:47], v[46:47], v[142:143]
	v_add_f64 v[54:55], v[62:63], -v[122:123]
	v_add_f64 v[64:65], v[144:145], -v[58:59]
	v_add_f64 v[46:47], v[46:47], v[128:129]
	v_add_f64 v[54:55], v[54:55], v[64:65]
	;; [unrolled: 1-line block ×4, first 2 shown]
	v_fmac_f64_e32 v[60:61], s[18:19], v[54:55]
	v_fmac_f64_e32 v[4:5], s[18:19], v[54:55]
	v_fma_f64 v[54:55], -0.5, v[46:47], v[6:7]
	v_add_f64 v[46:47], v[122:123], -v[58:59]
	v_fma_f64 v[58:59], s[20:21], v[46:47], v[54:55]
	v_add_f64 v[64:65], v[62:63], -v[144:145]
	v_add_f64 v[62:63], v[140:141], -v[142:143]
	;; [unrolled: 1-line block ×3, first 2 shown]
	v_fmac_f64_e32 v[54:55], s[16:17], v[46:47]
	v_fmac_f64_e32 v[58:59], s[22:23], v[64:65]
	v_add_f64 v[62:63], v[62:63], v[66:67]
	v_fmac_f64_e32 v[54:55], s[14:15], v[64:65]
	v_fmac_f64_e32 v[58:59], s[18:19], v[62:63]
	;; [unrolled: 1-line block ×3, first 2 shown]
	v_add_f64 v[62:63], v[140:141], v[130:131]
	v_mul_f64 v[36:37], v[244:245], v[40:41]
	v_fmac_f64_e32 v[6:7], -0.5, v[62:63]
	v_fmac_f64_e32 v[36:37], v[242:243], v[38:39]
	v_mul_f64 v[38:39], v[240:241], v[126:127]
	v_fma_f64 v[62:63], s[16:17], v[64:65], v[6:7]
	v_fmac_f64_e32 v[6:7], s[20:21], v[64:65]
	v_fmac_f64_e32 v[38:39], v[238:239], v[124:125]
	v_mul_f64 v[40:41], v[228:229], v[134:135]
	v_fmac_f64_e32 v[62:63], s[22:23], v[46:47]
	v_fmac_f64_e32 v[6:7], s[14:15], v[46:47]
	v_add_f64 v[46:47], v[8:9], v[36:37]
	v_fmac_f64_e32 v[40:41], v[226:227], v[132:133]
	v_mul_f64 v[42:43], v[224:225], v[138:139]
	v_add_f64 v[46:47], v[46:47], v[38:39]
	v_fmac_f64_e32 v[42:43], v[222:223], v[136:137]
	v_add_f64 v[46:47], v[46:47], v[40:41]
	v_add_f64 v[66:67], v[142:143], -v[140:141]
	v_add_f64 v[68:69], v[128:129], -v[130:131]
	v_add_f64 v[64:65], v[46:47], v[42:43]
	v_add_f64 v[46:47], v[38:39], v[40:41]
	;; [unrolled: 1-line block ×3, first 2 shown]
	v_fma_f64 v[68:69], -0.5, v[46:47], v[8:9]
	v_add_f64 v[46:47], v[28:29], -v[34:35]
	v_fmac_f64_e32 v[62:63], s[18:19], v[66:67]
	v_fmac_f64_e32 v[6:7], s[18:19], v[66:67]
	v_fma_f64 v[72:73], s[16:17], v[46:47], v[68:69]
	v_add_f64 v[66:67], v[30:31], -v[32:33]
	v_add_f64 v[70:71], v[36:37], -v[38:39]
	v_add_f64 v[74:75], v[42:43], -v[40:41]
	v_fmac_f64_e32 v[68:69], s[20:21], v[46:47]
	v_fmac_f64_e32 v[72:73], s[14:15], v[66:67]
	v_add_f64 v[70:71], v[70:71], v[74:75]
	v_fmac_f64_e32 v[68:69], s[22:23], v[66:67]
	v_fmac_f64_e32 v[72:73], s[18:19], v[70:71]
	;; [unrolled: 1-line block ×3, first 2 shown]
	v_add_f64 v[70:71], v[36:37], v[42:43]
	v_fmac_f64_e32 v[8:9], -0.5, v[70:71]
	v_fma_f64 v[76:77], s[20:21], v[66:67], v[8:9]
	v_fmac_f64_e32 v[8:9], s[16:17], v[66:67]
	v_fmac_f64_e32 v[76:77], s[14:15], v[46:47]
	;; [unrolled: 1-line block ×3, first 2 shown]
	v_add_f64 v[46:47], v[10:11], v[28:29]
	v_add_f64 v[46:47], v[46:47], v[30:31]
	v_add_f64 v[70:71], v[38:39], -v[36:37]
	v_add_f64 v[74:75], v[40:41], -v[42:43]
	v_add_f64 v[46:47], v[46:47], v[32:33]
	v_add_f64 v[70:71], v[70:71], v[74:75]
	v_add_f64 v[66:67], v[46:47], v[34:35]
	v_add_f64 v[46:47], v[30:31], v[32:33]
	v_fmac_f64_e32 v[76:77], s[18:19], v[70:71]
	v_fmac_f64_e32 v[8:9], s[18:19], v[70:71]
	v_fma_f64 v[70:71], -0.5, v[46:47], v[10:11]
	v_add_f64 v[36:37], v[36:37], -v[42:43]
	v_fma_f64 v[74:75], s[20:21], v[36:37], v[70:71]
	v_add_f64 v[38:39], v[38:39], -v[40:41]
	v_add_f64 v[40:41], v[28:29], -v[30:31]
	;; [unrolled: 1-line block ×3, first 2 shown]
	v_fmac_f64_e32 v[70:71], s[16:17], v[36:37]
	v_fmac_f64_e32 v[74:75], s[22:23], v[38:39]
	v_add_f64 v[40:41], v[40:41], v[42:43]
	v_fmac_f64_e32 v[70:71], s[14:15], v[38:39]
	v_fmac_f64_e32 v[74:75], s[18:19], v[40:41]
	;; [unrolled: 1-line block ×3, first 2 shown]
	v_add_f64 v[40:41], v[28:29], v[34:35]
	v_fmac_f64_e32 v[10:11], -0.5, v[40:41]
	v_fma_f64 v[78:79], s[16:17], v[38:39], v[10:11]
	v_add_f64 v[28:29], v[30:31], -v[28:29]
	v_add_f64 v[30:31], v[32:33], -v[34:35]
	v_fmac_f64_e32 v[10:11], s[20:21], v[38:39]
	v_add_f64 v[28:29], v[28:29], v[30:31]
	v_fmac_f64_e32 v[10:11], s[14:15], v[36:37]
	v_fmac_f64_e32 v[78:79], s[22:23], v[36:37]
	;; [unrolled: 1-line block ×4, first 2 shown]
	s_barrier
	ds_write_b128 v44, v[16:19]
	ds_write_b128 v44, v[20:23] offset:816
	ds_write_b128 v44, v[24:27] offset:1632
	;; [unrolled: 1-line block ×14, first 2 shown]
	s_waitcnt lgkmcnt(0)
	s_barrier
	ds_read_b128 v[0:3], v44
	ds_read_b128 v[4:7], v44 offset:816
	ds_read_b128 v[20:23], v44 offset:8160
	;; [unrolled: 1-line block ×14, first 2 shown]
	s_waitcnt lgkmcnt(4)
	v_mul_f64 v[62:63], v[86:87], v[48:49]
	v_fmac_f64_e32 v[62:63], v[84:85], v[46:47]
	v_mul_f64 v[46:47], v[86:87], v[46:47]
	v_fma_f64 v[46:47], v[84:85], v[48:49], -v[46:47]
	v_mul_f64 v[48:49], v[82:83], v[22:23]
	v_fmac_f64_e32 v[48:49], v[80:81], v[20:21]
	v_mul_f64 v[20:21], v[82:83], v[20:21]
	v_fma_f64 v[64:65], v[80:81], v[22:23], -v[20:21]
	v_mul_f64 v[20:21], v[94:95], v[28:29]
	v_fma_f64 v[68:69], v[92:93], v[30:31], -v[20:21]
	v_mul_f64 v[20:21], v[90:91], v[24:25]
	v_fma_f64 v[72:73], v[88:89], v[26:27], -v[20:21]
	v_mul_f64 v[20:21], v[102:103], v[32:33]
	v_fma_f64 v[76:77], v[100:101], v[34:35], -v[20:21]
	v_mul_f64 v[20:21], v[98:99], v[36:37]
	v_fma_f64 v[80:81], v[96:97], v[38:39], -v[20:21]
	s_waitcnt lgkmcnt(2)
	v_mul_f64 v[20:21], v[110:111], v[50:51]
	v_mul_f64 v[82:83], v[110:111], v[52:53]
	v_fma_f64 v[52:53], v[108:109], v[52:53], -v[20:21]
	v_mul_f64 v[20:21], v[106:107], v[40:41]
	v_fma_f64 v[86:87], v[104:105], v[42:43], -v[20:21]
	s_waitcnt lgkmcnt(1)
	v_mul_f64 v[20:21], v[118:119], v[54:55]
	v_mul_f64 v[66:67], v[94:95], v[30:31]
	;; [unrolled: 1-line block ×3, first 2 shown]
	v_fma_f64 v[90:91], v[116:117], v[56:57], -v[20:21]
	s_waitcnt lgkmcnt(0)
	v_mul_f64 v[20:21], v[114:115], v[58:59]
	v_add_f64 v[22:23], v[62:63], v[48:49]
	v_fmac_f64_e32 v[66:67], v[92:93], v[28:29]
	v_fmac_f64_e32 v[70:71], v[88:89], v[24:25]
	v_mul_f64 v[92:93], v[114:115], v[60:61]
	v_fma_f64 v[60:61], v[112:113], v[60:61], -v[20:21]
	v_add_f64 v[20:21], v[0:1], v[62:63]
	v_fmac_f64_e32 v[0:1], -0.5, v[22:23]
	v_add_f64 v[22:23], v[46:47], -v[64:65]
	v_add_f64 v[26:27], v[46:47], v[64:65]
	v_mul_f64 v[74:75], v[102:103], v[34:35]
	v_mul_f64 v[78:79], v[98:99], v[38:39]
	v_fma_f64 v[24:25], s[0:1], v[22:23], v[0:1]
	v_fmac_f64_e32 v[0:1], s[10:11], v[22:23]
	v_add_f64 v[22:23], v[2:3], v[46:47]
	v_fmac_f64_e32 v[2:3], -0.5, v[26:27]
	v_add_f64 v[28:29], v[62:63], -v[48:49]
	v_add_f64 v[30:31], v[66:67], v[70:71]
	v_fmac_f64_e32 v[74:75], v[100:101], v[32:33]
	v_fmac_f64_e32 v[78:79], v[96:97], v[36:37]
	v_fma_f64 v[26:27], s[10:11], v[28:29], v[2:3]
	v_fmac_f64_e32 v[2:3], s[0:1], v[28:29]
	v_add_f64 v[28:29], v[4:5], v[66:67]
	v_fmac_f64_e32 v[4:5], -0.5, v[30:31]
	v_add_f64 v[30:31], v[68:69], -v[72:73]
	v_add_f64 v[34:35], v[68:69], v[72:73]
	v_mul_f64 v[84:85], v[106:107], v[42:43]
	v_fma_f64 v[32:33], s[0:1], v[30:31], v[4:5]
	v_fmac_f64_e32 v[4:5], s[10:11], v[30:31]
	v_add_f64 v[30:31], v[6:7], v[68:69]
	v_fmac_f64_e32 v[6:7], -0.5, v[34:35]
	v_add_f64 v[36:37], v[66:67], -v[70:71]
	v_add_f64 v[38:39], v[74:75], v[78:79]
	v_fmac_f64_e32 v[82:83], v[108:109], v[50:51]
	v_fmac_f64_e32 v[84:85], v[104:105], v[40:41]
	v_fma_f64 v[34:35], s[10:11], v[36:37], v[6:7]
	v_fmac_f64_e32 v[6:7], s[0:1], v[36:37]
	v_add_f64 v[36:37], v[8:9], v[74:75]
	v_fmac_f64_e32 v[8:9], -0.5, v[38:39]
	v_add_f64 v[38:39], v[76:77], -v[80:81]
	v_add_f64 v[42:43], v[76:77], v[80:81]
	v_add_f64 v[20:21], v[20:21], v[48:49]
	v_fma_f64 v[40:41], s[0:1], v[38:39], v[8:9]
	v_fmac_f64_e32 v[8:9], s[10:11], v[38:39]
	v_add_f64 v[38:39], v[10:11], v[76:77]
	v_fmac_f64_e32 v[10:11], -0.5, v[42:43]
	v_add_f64 v[46:47], v[74:75], -v[78:79]
	v_add_f64 v[48:49], v[82:83], v[84:85]
	v_mul_f64 v[88:89], v[118:119], v[56:57]
	v_fma_f64 v[42:43], s[10:11], v[46:47], v[10:11]
	v_fmac_f64_e32 v[10:11], s[0:1], v[46:47]
	v_add_f64 v[46:47], v[12:13], v[82:83]
	v_fmac_f64_e32 v[12:13], -0.5, v[48:49]
	v_add_f64 v[48:49], v[52:53], -v[86:87]
	v_fmac_f64_e32 v[88:89], v[116:117], v[54:55]
	v_fmac_f64_e32 v[92:93], v[112:113], v[58:59]
	v_fma_f64 v[50:51], s[0:1], v[48:49], v[12:13]
	v_fmac_f64_e32 v[12:13], s[10:11], v[48:49]
	v_add_f64 v[48:49], v[14:15], v[52:53]
	v_add_f64 v[52:53], v[52:53], v[86:87]
	v_fmac_f64_e32 v[14:15], -0.5, v[52:53]
	v_add_f64 v[54:55], v[82:83], -v[84:85]
	v_add_f64 v[56:57], v[88:89], v[92:93]
	v_fma_f64 v[52:53], s[10:11], v[54:55], v[14:15]
	v_fmac_f64_e32 v[14:15], s[0:1], v[54:55]
	v_add_f64 v[54:55], v[16:17], v[88:89]
	v_fmac_f64_e32 v[16:17], -0.5, v[56:57]
	v_add_f64 v[56:57], v[90:91], -v[60:61]
	v_fma_f64 v[58:59], s[0:1], v[56:57], v[16:17]
	v_fmac_f64_e32 v[16:17], s[10:11], v[56:57]
	v_add_f64 v[56:57], v[18:19], v[90:91]
	v_add_f64 v[56:57], v[56:57], v[60:61]
	;; [unrolled: 1-line block ×4, first 2 shown]
	v_fmac_f64_e32 v[18:19], -0.5, v[60:61]
	v_add_f64 v[62:63], v[88:89], -v[92:93]
	v_add_f64 v[28:29], v[28:29], v[70:71]
	v_add_f64 v[30:31], v[30:31], v[72:73]
	;; [unrolled: 1-line block ×7, first 2 shown]
	v_fma_f64 v[60:61], s[10:11], v[62:63], v[18:19]
	v_fmac_f64_e32 v[18:19], s[0:1], v[62:63]
	ds_write_b128 v45, v[20:23]
	ds_write_b128 v45, v[24:27] offset:4080
	ds_write_b128 v45, v[0:3] offset:8160
	;; [unrolled: 1-line block ×14, first 2 shown]
	s_waitcnt lgkmcnt(0)
	s_barrier
	s_and_b64 exec, exec, s[2:3]
	s_cbranch_execz .LBB0_15
; %bb.14:
	global_load_dwordx4 v[2:5], v194, s[8:9]
	v_mad_u64_u32 v[16:17], s[0:1], s6, v234, 0
	v_lshl_add_u32 v0, v235, 4, v188
	ds_read_b128 v[6:9], v45
	ds_read_b128 v[10:13], v0 offset:720
	v_mov_b32_e32 v20, v17
	v_mad_u64_u32 v[18:19], s[2:3], s4, v232, 0
	v_mad_u64_u32 v[20:21], s[2:3], s7, v234, v[20:21]
	v_mov_b32_e32 v14, s12
	v_mov_b32_e32 v15, s13
	;; [unrolled: 1-line block ×4, first 2 shown]
	s_mov_b32 s0, 0x156ac015
	v_mad_u64_u32 v[22:23], s[2:3], s5, v232, v[22:23]
	v_lshl_add_u64 v[14:15], v[16:17], 4, v[14:15]
	s_mov_b32 s1, 0x3f556ac0
	v_mov_b32_e32 v19, v22
	v_lshl_add_u64 v[14:15], v[18:19], 4, v[14:15]
	v_mov_b32_e32 v1, 0x2d0
	s_mul_i32 s2, s5, 0x2d0
	v_mov_b32_e32 v195, 0
	s_movk_i32 s3, 0x1000
	s_waitcnt vmcnt(0) lgkmcnt(1)
	v_mul_f64 v[16:17], v[8:9], v[4:5]
	v_mul_f64 v[4:5], v[6:7], v[4:5]
	v_fmac_f64_e32 v[16:17], v[6:7], v[2:3]
	v_fma_f64 v[4:5], v[2:3], v[8:9], -v[4:5]
	v_mul_f64 v[2:3], v[16:17], s[0:1]
	v_mul_f64 v[4:5], v[4:5], s[0:1]
	global_store_dwordx4 v[14:15], v[2:5], off
	global_load_dwordx4 v[2:5], v194, s[8:9] offset:720
	v_mad_u64_u32 v[14:15], s[6:7], s4, v1, v[14:15]
	v_add_u32_e32 v15, s2, v15
	s_waitcnt vmcnt(0) lgkmcnt(0)
	v_mul_f64 v[6:7], v[12:13], v[4:5]
	v_mul_f64 v[4:5], v[10:11], v[4:5]
	v_fmac_f64_e32 v[6:7], v[10:11], v[2:3]
	v_fma_f64 v[4:5], v[2:3], v[12:13], -v[4:5]
	v_mul_f64 v[2:3], v[6:7], s[0:1]
	v_mul_f64 v[4:5], v[4:5], s[0:1]
	global_store_dwordx4 v[14:15], v[2:5], off
	global_load_dwordx4 v[2:5], v194, s[8:9] offset:1440
	ds_read_b128 v[6:9], v0 offset:1440
	ds_read_b128 v[10:13], v0 offset:2160
	v_mad_u64_u32 v[14:15], s[6:7], s4, v1, v[14:15]
	v_add_u32_e32 v15, s2, v15
	s_waitcnt vmcnt(0) lgkmcnt(1)
	v_mul_f64 v[16:17], v[8:9], v[4:5]
	v_mul_f64 v[4:5], v[6:7], v[4:5]
	v_fmac_f64_e32 v[16:17], v[6:7], v[2:3]
	v_fma_f64 v[4:5], v[2:3], v[8:9], -v[4:5]
	v_mul_f64 v[2:3], v[16:17], s[0:1]
	v_mul_f64 v[4:5], v[4:5], s[0:1]
	global_store_dwordx4 v[14:15], v[2:5], off
	global_load_dwordx4 v[2:5], v194, s[8:9] offset:2160
	v_mad_u64_u32 v[14:15], s[6:7], s4, v1, v[14:15]
	v_add_u32_e32 v15, s2, v15
	s_waitcnt vmcnt(0) lgkmcnt(0)
	v_mul_f64 v[6:7], v[12:13], v[4:5]
	v_mul_f64 v[4:5], v[10:11], v[4:5]
	v_fmac_f64_e32 v[6:7], v[10:11], v[2:3]
	v_fma_f64 v[4:5], v[2:3], v[12:13], -v[4:5]
	v_mul_f64 v[2:3], v[6:7], s[0:1]
	v_mul_f64 v[4:5], v[4:5], s[0:1]
	global_store_dwordx4 v[14:15], v[2:5], off
	global_load_dwordx4 v[2:5], v194, s[8:9] offset:2880
	ds_read_b128 v[6:9], v0 offset:2880
	ds_read_b128 v[10:13], v0 offset:3600
	v_mad_u64_u32 v[14:15], s[6:7], s4, v1, v[14:15]
	v_add_u32_e32 v15, s2, v15
	s_waitcnt vmcnt(0) lgkmcnt(1)
	v_mul_f64 v[16:17], v[8:9], v[4:5]
	v_mul_f64 v[4:5], v[6:7], v[4:5]
	v_fmac_f64_e32 v[16:17], v[6:7], v[2:3]
	v_fma_f64 v[4:5], v[2:3], v[8:9], -v[4:5]
	v_mul_f64 v[2:3], v[16:17], s[0:1]
	v_mul_f64 v[4:5], v[4:5], s[0:1]
	global_store_dwordx4 v[14:15], v[2:5], off
	global_load_dwordx4 v[2:5], v194, s[8:9] offset:3600
	v_lshl_add_u64 v[16:17], s[8:9], 0, v[194:195]
	v_mad_u64_u32 v[14:15], s[6:7], s4, v1, v[14:15]
	v_add_co_u32_e32 v18, vcc, s3, v16
	v_add_u32_e32 v15, s2, v15
	s_nop 0
	v_addc_co_u32_e32 v19, vcc, 0, v17, vcc
	s_movk_i32 s3, 0x2000
	v_add_co_u32_e32 v16, vcc, s3, v16
	s_waitcnt vmcnt(0) lgkmcnt(0)
	v_mul_f64 v[6:7], v[12:13], v[4:5]
	v_mul_f64 v[4:5], v[10:11], v[4:5]
	v_fmac_f64_e32 v[6:7], v[10:11], v[2:3]
	v_fma_f64 v[4:5], v[2:3], v[12:13], -v[4:5]
	v_mul_f64 v[2:3], v[6:7], s[0:1]
	v_mul_f64 v[4:5], v[4:5], s[0:1]
	global_store_dwordx4 v[14:15], v[2:5], off
	global_load_dwordx4 v[2:5], v[18:19], off offset:224
	ds_read_b128 v[6:9], v0 offset:4320
	ds_read_b128 v[10:13], v0 offset:5040
	v_mad_u64_u32 v[14:15], s[6:7], s4, v1, v[14:15]
	v_add_u32_e32 v15, s2, v15
	v_addc_co_u32_e32 v17, vcc, 0, v17, vcc
	s_waitcnt vmcnt(0) lgkmcnt(1)
	v_mul_f64 v[20:21], v[8:9], v[4:5]
	v_mul_f64 v[4:5], v[6:7], v[4:5]
	v_fmac_f64_e32 v[20:21], v[6:7], v[2:3]
	v_fma_f64 v[4:5], v[2:3], v[8:9], -v[4:5]
	v_mul_f64 v[2:3], v[20:21], s[0:1]
	v_mul_f64 v[4:5], v[4:5], s[0:1]
	global_store_dwordx4 v[14:15], v[2:5], off
	global_load_dwordx4 v[2:5], v[18:19], off offset:944
	v_mad_u64_u32 v[14:15], s[6:7], s4, v1, v[14:15]
	v_add_u32_e32 v15, s2, v15
	s_waitcnt vmcnt(0) lgkmcnt(0)
	v_mul_f64 v[6:7], v[12:13], v[4:5]
	v_mul_f64 v[4:5], v[10:11], v[4:5]
	v_fmac_f64_e32 v[6:7], v[10:11], v[2:3]
	v_fma_f64 v[4:5], v[2:3], v[12:13], -v[4:5]
	v_mul_f64 v[2:3], v[6:7], s[0:1]
	v_mul_f64 v[4:5], v[4:5], s[0:1]
	global_store_dwordx4 v[14:15], v[2:5], off
	global_load_dwordx4 v[2:5], v[18:19], off offset:1664
	ds_read_b128 v[6:9], v0 offset:5760
	ds_read_b128 v[10:13], v0 offset:6480
	v_mad_u64_u32 v[14:15], s[6:7], s4, v1, v[14:15]
	v_add_u32_e32 v15, s2, v15
	s_waitcnt vmcnt(0) lgkmcnt(1)
	v_mul_f64 v[20:21], v[8:9], v[4:5]
	v_mul_f64 v[4:5], v[6:7], v[4:5]
	v_fmac_f64_e32 v[20:21], v[6:7], v[2:3]
	v_fma_f64 v[4:5], v[2:3], v[8:9], -v[4:5]
	v_mul_f64 v[2:3], v[20:21], s[0:1]
	v_mul_f64 v[4:5], v[4:5], s[0:1]
	global_store_dwordx4 v[14:15], v[2:5], off
	global_load_dwordx4 v[2:5], v[18:19], off offset:2384
	v_mad_u64_u32 v[14:15], s[6:7], s4, v1, v[14:15]
	v_add_u32_e32 v15, s2, v15
	s_waitcnt vmcnt(0) lgkmcnt(0)
	v_mul_f64 v[6:7], v[12:13], v[4:5]
	v_mul_f64 v[4:5], v[10:11], v[4:5]
	v_fmac_f64_e32 v[6:7], v[10:11], v[2:3]
	v_fma_f64 v[4:5], v[2:3], v[12:13], -v[4:5]
	v_mul_f64 v[2:3], v[6:7], s[0:1]
	v_mul_f64 v[4:5], v[4:5], s[0:1]
	global_store_dwordx4 v[14:15], v[2:5], off
	global_load_dwordx4 v[2:5], v[18:19], off offset:3104
	ds_read_b128 v[6:9], v0 offset:7200
	ds_read_b128 v[10:13], v0 offset:7920
	v_mad_u64_u32 v[14:15], s[6:7], s4, v1, v[14:15]
	v_add_u32_e32 v15, s2, v15
	;; [unrolled: 24-line block ×4, first 2 shown]
	s_waitcnt vmcnt(0) lgkmcnt(1)
	v_mul_f64 v[18:19], v[8:9], v[4:5]
	v_mul_f64 v[4:5], v[6:7], v[4:5]
	v_fmac_f64_e32 v[18:19], v[6:7], v[2:3]
	v_fma_f64 v[4:5], v[2:3], v[8:9], -v[4:5]
	v_mul_f64 v[2:3], v[18:19], s[0:1]
	v_mul_f64 v[4:5], v[4:5], s[0:1]
	global_store_dwordx4 v[14:15], v[2:5], off
	global_load_dwordx4 v[2:5], v[16:17], off offset:2608
	v_mad_u64_u32 v[14:15], s[6:7], s4, v1, v[14:15]
	v_add_u32_e32 v15, s2, v15
	s_waitcnt vmcnt(0) lgkmcnt(0)
	v_mul_f64 v[6:7], v[12:13], v[4:5]
	v_mul_f64 v[4:5], v[10:11], v[4:5]
	v_fmac_f64_e32 v[6:7], v[10:11], v[2:3]
	v_fma_f64 v[4:5], v[2:3], v[12:13], -v[4:5]
	v_mul_f64 v[2:3], v[6:7], s[0:1]
	v_mul_f64 v[4:5], v[4:5], s[0:1]
	global_store_dwordx4 v[14:15], v[2:5], off
	global_load_dwordx4 v[2:5], v[16:17], off offset:3328
	ds_read_b128 v[6:9], v0 offset:11520
	v_mad_u64_u32 v[10:11], s[4:5], s4, v1, v[14:15]
	v_add_u32_e32 v11, s2, v11
	s_waitcnt vmcnt(0) lgkmcnt(0)
	v_mul_f64 v[0:1], v[8:9], v[4:5]
	v_mul_f64 v[4:5], v[6:7], v[4:5]
	v_fmac_f64_e32 v[0:1], v[6:7], v[2:3]
	v_fma_f64 v[2:3], v[2:3], v[8:9], -v[4:5]
	v_mul_f64 v[0:1], v[0:1], s[0:1]
	v_mul_f64 v[2:3], v[2:3], s[0:1]
	global_store_dwordx4 v[10:11], v[0:3], off
.LBB0_15:
	s_endpgm
	.section	.rodata,"a",@progbits
	.p2align	6, 0x0
	.amdhsa_kernel bluestein_single_fwd_len765_dim1_dp_op_CI_CI
		.amdhsa_group_segment_fixed_size 61200
		.amdhsa_private_segment_fixed_size 0
		.amdhsa_kernarg_size 104
		.amdhsa_user_sgpr_count 2
		.amdhsa_user_sgpr_dispatch_ptr 0
		.amdhsa_user_sgpr_queue_ptr 0
		.amdhsa_user_sgpr_kernarg_segment_ptr 1
		.amdhsa_user_sgpr_dispatch_id 0
		.amdhsa_user_sgpr_kernarg_preload_length 0
		.amdhsa_user_sgpr_kernarg_preload_offset 0
		.amdhsa_user_sgpr_private_segment_size 0
		.amdhsa_uses_dynamic_stack 0
		.amdhsa_enable_private_segment 0
		.amdhsa_system_sgpr_workgroup_id_x 1
		.amdhsa_system_sgpr_workgroup_id_y 0
		.amdhsa_system_sgpr_workgroup_id_z 0
		.amdhsa_system_sgpr_workgroup_info 0
		.amdhsa_system_vgpr_workitem_id 0
		.amdhsa_next_free_vgpr 360
		.amdhsa_next_free_sgpr 62
		.amdhsa_accum_offset 256
		.amdhsa_reserve_vcc 1
		.amdhsa_float_round_mode_32 0
		.amdhsa_float_round_mode_16_64 0
		.amdhsa_float_denorm_mode_32 3
		.amdhsa_float_denorm_mode_16_64 3
		.amdhsa_dx10_clamp 1
		.amdhsa_ieee_mode 1
		.amdhsa_fp16_overflow 0
		.amdhsa_tg_split 0
		.amdhsa_exception_fp_ieee_invalid_op 0
		.amdhsa_exception_fp_denorm_src 0
		.amdhsa_exception_fp_ieee_div_zero 0
		.amdhsa_exception_fp_ieee_overflow 0
		.amdhsa_exception_fp_ieee_underflow 0
		.amdhsa_exception_fp_ieee_inexact 0
		.amdhsa_exception_int_div_zero 0
	.end_amdhsa_kernel
	.text
.Lfunc_end0:
	.size	bluestein_single_fwd_len765_dim1_dp_op_CI_CI, .Lfunc_end0-bluestein_single_fwd_len765_dim1_dp_op_CI_CI
                                        ; -- End function
	.section	.AMDGPU.csdata,"",@progbits
; Kernel info:
; codeLenInByte = 26764
; NumSgprs: 68
; NumVgprs: 256
; NumAgprs: 104
; TotalNumVgprs: 360
; ScratchSize: 0
; MemoryBound: 0
; FloatMode: 240
; IeeeMode: 1
; LDSByteSize: 61200 bytes/workgroup (compile time only)
; SGPRBlocks: 8
; VGPRBlocks: 44
; NumSGPRsForWavesPerEU: 68
; NumVGPRsForWavesPerEU: 360
; AccumOffset: 256
; Occupancy: 1
; WaveLimiterHint : 1
; COMPUTE_PGM_RSRC2:SCRATCH_EN: 0
; COMPUTE_PGM_RSRC2:USER_SGPR: 2
; COMPUTE_PGM_RSRC2:TRAP_HANDLER: 0
; COMPUTE_PGM_RSRC2:TGID_X_EN: 1
; COMPUTE_PGM_RSRC2:TGID_Y_EN: 0
; COMPUTE_PGM_RSRC2:TGID_Z_EN: 0
; COMPUTE_PGM_RSRC2:TIDIG_COMP_CNT: 0
; COMPUTE_PGM_RSRC3_GFX90A:ACCUM_OFFSET: 63
; COMPUTE_PGM_RSRC3_GFX90A:TG_SPLIT: 0
	.text
	.p2alignl 6, 3212836864
	.fill 256, 4, 3212836864
	.type	__hip_cuid_4d5ec0c404b95620,@object ; @__hip_cuid_4d5ec0c404b95620
	.section	.bss,"aw",@nobits
	.globl	__hip_cuid_4d5ec0c404b95620
__hip_cuid_4d5ec0c404b95620:
	.byte	0                               ; 0x0
	.size	__hip_cuid_4d5ec0c404b95620, 1

	.ident	"AMD clang version 19.0.0git (https://github.com/RadeonOpenCompute/llvm-project roc-6.4.0 25133 c7fe45cf4b819c5991fe208aaa96edf142730f1d)"
	.section	".note.GNU-stack","",@progbits
	.addrsig
	.addrsig_sym __hip_cuid_4d5ec0c404b95620
	.amdgpu_metadata
---
amdhsa.kernels:
  - .agpr_count:     104
    .args:
      - .actual_access:  read_only
        .address_space:  global
        .offset:         0
        .size:           8
        .value_kind:     global_buffer
      - .actual_access:  read_only
        .address_space:  global
        .offset:         8
        .size:           8
        .value_kind:     global_buffer
      - .actual_access:  read_only
        .address_space:  global
        .offset:         16
        .size:           8
        .value_kind:     global_buffer
      - .actual_access:  read_only
        .address_space:  global
        .offset:         24
        .size:           8
        .value_kind:     global_buffer
      - .actual_access:  read_only
        .address_space:  global
        .offset:         32
        .size:           8
        .value_kind:     global_buffer
      - .offset:         40
        .size:           8
        .value_kind:     by_value
      - .address_space:  global
        .offset:         48
        .size:           8
        .value_kind:     global_buffer
      - .address_space:  global
        .offset:         56
        .size:           8
        .value_kind:     global_buffer
      - .address_space:  global
        .offset:         64
        .size:           8
        .value_kind:     global_buffer
      - .address_space:  global
        .offset:         72
        .size:           8
        .value_kind:     global_buffer
      - .offset:         80
        .size:           4
        .value_kind:     by_value
      - .address_space:  global
        .offset:         88
        .size:           8
        .value_kind:     global_buffer
      - .address_space:  global
        .offset:         96
        .size:           8
        .value_kind:     global_buffer
    .group_segment_fixed_size: 61200
    .kernarg_segment_align: 8
    .kernarg_segment_size: 104
    .language:       OpenCL C
    .language_version:
      - 2
      - 0
    .max_flat_workgroup_size: 255
    .name:           bluestein_single_fwd_len765_dim1_dp_op_CI_CI
    .private_segment_fixed_size: 0
    .sgpr_count:     68
    .sgpr_spill_count: 0
    .symbol:         bluestein_single_fwd_len765_dim1_dp_op_CI_CI.kd
    .uniform_work_group_size: 1
    .uses_dynamic_stack: false
    .vgpr_count:     360
    .vgpr_spill_count: 0
    .wavefront_size: 64
amdhsa.target:   amdgcn-amd-amdhsa--gfx950
amdhsa.version:
  - 1
  - 2
...

	.end_amdgpu_metadata
